;; amdgpu-corpus repo=ROCm/rocFFT kind=compiled arch=gfx906 opt=O3
	.text
	.amdgcn_target "amdgcn-amd-amdhsa--gfx906"
	.amdhsa_code_object_version 6
	.protected	bluestein_single_back_len2000_dim1_dp_op_CI_CI ; -- Begin function bluestein_single_back_len2000_dim1_dp_op_CI_CI
	.globl	bluestein_single_back_len2000_dim1_dp_op_CI_CI
	.p2align	8
	.type	bluestein_single_back_len2000_dim1_dp_op_CI_CI,@function
bluestein_single_back_len2000_dim1_dp_op_CI_CI: ; @bluestein_single_back_len2000_dim1_dp_op_CI_CI
; %bb.0:
	s_load_dwordx4 s[12:15], s[4:5], 0x28
	s_mov_b64 s[26:27], s[2:3]
	v_mul_u32_u24_e32 v1, 0x20d, v0
	s_mov_b64 s[24:25], s[0:1]
	v_add_u32_sdwa v4, s6, v1 dst_sel:DWORD dst_unused:UNUSED_PAD src0_sel:DWORD src1_sel:WORD_1
	v_mov_b32_e32 v5, 0
	s_add_u32 s24, s24, s7
	s_waitcnt lgkmcnt(0)
	v_cmp_gt_u64_e32 vcc, s[12:13], v[4:5]
	s_addc_u32 s25, s25, 0
	s_and_saveexec_b64 s[0:1], vcc
	s_cbranch_execz .LBB0_31
; %bb.1:
	s_load_dwordx4 s[8:11], s[4:5], 0x18
	s_load_dwordx2 s[12:13], s[4:5], 0x0
	s_movk_i32 s6, 0x7d
	v_mul_lo_u16_sdwa v1, v1, s6 dst_sel:DWORD dst_unused:UNUSED_PAD src0_sel:WORD_1 src1_sel:DWORD
	v_sub_u16_e32 v110, v0, v1
	s_waitcnt lgkmcnt(0)
	s_load_dwordx4 s[0:3], s[8:9], 0x0
	v_mov_b32_e32 v5, v4
	buffer_store_dword v5, off, s[24:27], 0 offset:52 ; 4-byte Folded Spill
	s_nop 0
	buffer_store_dword v6, off, s[24:27], 0 offset:56 ; 4-byte Folded Spill
	v_lshlrev_b32_e32 v96, 4, v110
	s_waitcnt lgkmcnt(0)
	v_mad_u64_u32 v[0:1], s[6:7], s2, v4, 0
	v_mad_u64_u32 v[2:3], s[6:7], s0, v110, 0
	s_mul_i32 s6, s1, 0x190
	s_mul_hi_u32 s7, s0, 0x190
	v_mad_u64_u32 v[4:5], s[2:3], s3, v4, v[1:2]
	s_add_i32 s7, s7, s6
	s_mul_i32 s6, s0, 0x190
	v_mad_u64_u32 v[5:6], s[2:3], s1, v110, v[3:4]
	v_mov_b32_e32 v1, v4
	v_lshlrev_b64 v[0:1], 4, v[0:1]
	v_mov_b32_e32 v6, s15
	v_mov_b32_e32 v3, v5
	v_add_co_u32_e32 v4, vcc, s14, v0
	v_addc_co_u32_e32 v5, vcc, v6, v1, vcc
	v_lshlrev_b64 v[0:1], 4, v[2:3]
	v_mov_b32_e32 v2, s13
	v_add_co_u32_e32 v0, vcc, v4, v0
	v_add_co_u32_e64 v97, s[2:3], s12, v96
	v_addc_co_u32_e32 v1, vcc, v5, v1, vcc
	v_addc_co_u32_e64 v70, vcc, 0, v2, s[2:3]
	s_lshl_b64 s[14:15], s[6:7], 4
	v_mov_b32_e32 v68, s15
	v_add_co_u32_e32 v2, vcc, s14, v0
	v_addc_co_u32_e32 v3, vcc, v1, v68, vcc
	s_movk_i32 s6, 0x1000
	global_load_dwordx4 v[10:13], v[0:1], off
	global_load_dwordx4 v[14:17], v[2:3], off
	v_add_co_u32_e32 v0, vcc, s6, v97
	v_addc_co_u32_e32 v1, vcc, 0, v70, vcc
	v_add_co_u32_e32 v2, vcc, s14, v2
	v_addc_co_u32_e32 v3, vcc, v3, v68, vcc
	s_movk_i32 s6, 0x3000
	global_load_dwordx4 v[82:85], v[0:1], off offset:2304
	v_add_co_u32_e32 v0, vcc, s6, v97
	v_addc_co_u32_e32 v1, vcc, 0, v70, vcc
	global_load_dwordx4 v[18:21], v[2:3], off
	v_add_co_u32_e32 v2, vcc, s14, v2
	v_addc_co_u32_e32 v3, vcc, v3, v68, vcc
	s_movk_i32 s6, 0x4000
	v_add_co_u32_e32 v4, vcc, s6, v97
	v_addc_co_u32_e32 v5, vcc, 0, v70, vcc
	v_add_co_u32_e32 v6, vcc, s14, v2
	v_addc_co_u32_e32 v7, vcc, v3, v68, vcc
	s_movk_i32 s6, 0x6000
	global_load_dwordx4 v[22:25], v[2:3], off
	v_add_co_u32_e32 v2, vcc, s6, v97
	s_mul_hi_u32 s6, s0, 0xfffffa3d
	s_mulk_i32 s1, 0xfa3d
	s_sub_i32 s6, s6, s0
	s_add_i32 s1, s6, s1
	s_mulk_i32 s0, 0xfa3d
	v_addc_co_u32_e32 v3, vcc, 0, v70, vcc
	s_lshl_b64 s[16:17], s[0:1], 4
	global_load_dwordx4 v[26:29], v[6:7], off
	v_mov_b32_e32 v50, s17
	v_add_co_u32_e32 v6, vcc, s16, v6
	v_addc_co_u32_e32 v7, vcc, v7, v50, vcc
	global_load_dwordx4 v[90:93], v[0:1], off offset:512
	global_load_dwordx4 v[86:89], v[4:5], off offset:2816
	;; [unrolled: 1-line block ×3, first 2 shown]
	global_load_dwordx4 v[30:33], v[6:7], off
	global_load_dwordx4 v[143:146], v96, s[12:13]
	global_load_dwordx4 v[102:105], v96, s[12:13] offset:2000
	v_add_co_u32_e32 v6, vcc, s14, v6
	v_addc_co_u32_e32 v7, vcc, v7, v68, vcc
	s_movk_i32 s0, 0x2000
	v_add_co_u32_e32 v8, vcc, s0, v97
	v_addc_co_u32_e32 v9, vcc, 0, v70, vcc
	global_load_dwordx4 v[34:37], v[6:7], off
	v_add_co_u32_e32 v6, vcc, s14, v6
	v_addc_co_u32_e32 v7, vcc, v7, v68, vcc
	global_load_dwordx4 v[106:109], v[8:9], off offset:208
	global_load_dwordx4 v[38:41], v[6:7], off
	global_load_dwordx4 v[111:114], v[0:1], off offset:2512
	v_add_co_u32_e32 v6, vcc, s14, v6
	v_addc_co_u32_e32 v7, vcc, v7, v68, vcc
	s_movk_i32 s0, 0x5000
	v_add_co_u32_e32 v66, vcc, s0, v97
	v_addc_co_u32_e32 v67, vcc, 0, v70, vcc
	global_load_dwordx4 v[42:45], v[6:7], off
	v_add_co_u32_e32 v6, vcc, s14, v6
	v_addc_co_u32_e32 v7, vcc, v7, v68, vcc
	global_load_dwordx4 v[115:118], v[66:67], off offset:720
	global_load_dwordx4 v[46:49], v[6:7], off
	global_load_dwordx4 v[119:122], v[2:3], off offset:3024
	v_add_co_u32_e32 v6, vcc, s16, v6
	v_addc_co_u32_e32 v7, vcc, v7, v50, vcc
	global_load_dwordx4 v[50:53], v[6:7], off
	global_load_dwordx4 v[123:126], v96, s[12:13] offset:4000
	v_add_co_u32_e32 v6, vcc, s14, v6
	v_addc_co_u32_e32 v7, vcc, v7, v68, vcc
	global_load_dwordx4 v[54:57], v[6:7], off
	global_load_dwordx4 v[131:134], v[8:9], off offset:2208
	v_add_co_u32_e32 v6, vcc, s14, v6
	v_addc_co_u32_e32 v7, vcc, v7, v68, vcc
	global_load_dwordx4 v[58:61], v[6:7], off
	global_load_dwordx4 v[127:130], v[4:5], off offset:416
	v_add_co_u32_e32 v6, vcc, s14, v6
	v_addc_co_u32_e32 v7, vcc, v7, v68, vcc
	v_add_co_u32_e32 v8, vcc, s14, v6
	v_addc_co_u32_e32 v9, vcc, v7, v68, vcc
	s_movk_i32 s0, 0x7000
	global_load_dwordx4 v[62:65], v[6:7], off
	global_load_dwordx4 v[135:138], v[66:67], off offset:2720
	v_add_co_u32_e32 v6, vcc, s0, v97
	buffer_store_dword v70, off, s[24:27], 0 ; 4-byte Folded Spill
	v_addc_co_u32_e32 v7, vcc, 0, v70, vcc
	s_waitcnt vmcnt(26)
	v_mul_f64 v[74:75], v[16:17], v[84:85]
	global_load_dwordx4 v[66:69], v[8:9], off
	global_load_dwordx4 v[139:142], v[6:7], off offset:928
	v_mul_f64 v[76:77], v[14:15], v[84:85]
	s_load_dwordx2 s[6:7], s[4:5], 0x38
	v_cmp_gt_u16_e64 s[0:1], 25, v110
	v_fma_f64 v[14:15], v[14:15], v[82:83], v[74:75]
	s_waitcnt vmcnt(24)
	v_mul_f64 v[78:79], v[20:21], v[92:93]
	v_mul_f64 v[80:81], v[18:19], v[92:93]
	s_waitcnt vmcnt(20)
	v_mul_f64 v[70:71], v[12:13], v[145:146]
	v_mul_f64 v[72:73], v[10:11], v[145:146]
	;; [unrolled: 1-line block ×3, first 2 shown]
	v_fma_f64 v[18:19], v[18:19], v[90:91], v[78:79]
	s_waitcnt vmcnt(19)
	v_mul_f64 v[78:79], v[32:33], v[104:105]
	v_fma_f64 v[10:11], v[10:11], v[143:144], v[70:71]
	buffer_store_dword v143, off, s[24:27], 0 offset:240 ; 4-byte Folded Spill
	s_nop 0
	buffer_store_dword v144, off, s[24:27], 0 offset:244 ; 4-byte Folded Spill
	buffer_store_dword v145, off, s[24:27], 0 offset:248 ; 4-byte Folded Spill
	buffer_store_dword v146, off, s[24:27], 0 offset:252 ; 4-byte Folded Spill
	buffer_store_dword v82, off, s[24:27], 0 offset:4 ; 4-byte Folded Spill
	s_nop 0
	buffer_store_dword v83, off, s[24:27], 0 offset:8 ; 4-byte Folded Spill
	buffer_store_dword v84, off, s[24:27], 0 offset:12 ; 4-byte Folded Spill
	buffer_store_dword v85, off, s[24:27], 0 offset:16 ; 4-byte Folded Spill
	;; [unrolled: 5-line block ×3, first 2 shown]
	v_mul_f64 v[70:71], v[24:25], v[88:89]
	s_waitcnt vmcnt(29)
	v_mul_f64 v[84:85], v[34:35], v[108:109]
	v_fma_f64 v[12:13], v[12:13], v[143:144], -v[72:73]
	v_fma_f64 v[16:17], v[16:17], v[82:83], -v[76:77]
	v_mul_f64 v[82:83], v[36:37], v[108:109]
	v_mul_f64 v[72:73], v[22:23], v[88:89]
	v_fma_f64 v[22:23], v[22:23], v[86:87], v[70:71]
	buffer_store_dword v86, off, s[24:27], 0 offset:20 ; 4-byte Folded Spill
	s_nop 0
	buffer_store_dword v87, off, s[24:27], 0 offset:24 ; 4-byte Folded Spill
	buffer_store_dword v88, off, s[24:27], 0 offset:28 ; 4-byte Folded Spill
	;; [unrolled: 1-line block ×3, first 2 shown]
	v_mul_f64 v[76:77], v[26:27], v[100:101]
	v_fma_f64 v[26:27], v[26:27], v[98:99], v[74:75]
	buffer_store_dword v98, off, s[24:27], 0 offset:60 ; 4-byte Folded Spill
	s_nop 0
	buffer_store_dword v99, off, s[24:27], 0 offset:64 ; 4-byte Folded Spill
	buffer_store_dword v100, off, s[24:27], 0 offset:68 ; 4-byte Folded Spill
	;; [unrolled: 1-line block ×3, first 2 shown]
	v_fma_f64 v[20:21], v[20:21], v[90:91], -v[80:81]
	v_mul_f64 v[80:81], v[30:31], v[104:105]
	v_fma_f64 v[30:31], v[30:31], v[102:103], v[78:79]
	buffer_store_dword v102, off, s[24:27], 0 offset:80 ; 4-byte Folded Spill
	s_nop 0
	buffer_store_dword v103, off, s[24:27], 0 offset:84 ; 4-byte Folded Spill
	buffer_store_dword v104, off, s[24:27], 0 offset:88 ; 4-byte Folded Spill
	;; [unrolled: 1-line block ×3, first 2 shown]
	v_fma_f64 v[34:35], v[34:35], v[106:107], v[82:83]
	buffer_store_dword v106, off, s[24:27], 0 offset:96 ; 4-byte Folded Spill
	s_nop 0
	buffer_store_dword v107, off, s[24:27], 0 offset:100 ; 4-byte Folded Spill
	buffer_store_dword v108, off, s[24:27], 0 offset:104 ; 4-byte Folded Spill
	;; [unrolled: 1-line block ×3, first 2 shown]
	s_load_dwordx4 s[8:11], s[10:11], 0x0
	v_fma_f64 v[24:25], v[24:25], v[86:87], -v[72:73]
	v_fma_f64 v[28:29], v[28:29], v[98:99], -v[76:77]
	;; [unrolled: 1-line block ×4, first 2 shown]
	ds_write_b128 v96, v[10:13]
	ds_write_b128 v96, v[14:17] offset:6400
	ds_write_b128 v96, v[18:21] offset:12800
	;; [unrolled: 1-line block ×6, first 2 shown]
	s_waitcnt vmcnt(43)
	v_mul_f64 v[10:11], v[40:41], v[113:114]
	v_mul_f64 v[12:13], v[38:39], v[113:114]
	s_waitcnt vmcnt(41)
	v_mul_f64 v[14:15], v[44:45], v[117:118]
	s_waitcnt vmcnt(39)
	;; [unrolled: 2-line block ×6, first 2 shown]
	v_mul_f64 v[34:35], v[64:65], v[137:138]
	v_fma_f64 v[10:11], v[38:39], v[111:112], v[10:11]
	buffer_store_dword v111, off, s[24:27], 0 offset:112 ; 4-byte Folded Spill
	s_nop 0
	buffer_store_dword v112, off, s[24:27], 0 offset:116 ; 4-byte Folded Spill
	buffer_store_dword v113, off, s[24:27], 0 offset:120 ; 4-byte Folded Spill
	;; [unrolled: 1-line block ×3, first 2 shown]
	s_waitcnt vmcnt(32)
	v_mul_f64 v[38:39], v[68:69], v[141:142]
	v_mul_f64 v[16:17], v[42:43], v[117:118]
	v_fma_f64 v[14:15], v[42:43], v[115:116], v[14:15]
	buffer_store_dword v115, off, s[24:27], 0 offset:128 ; 4-byte Folded Spill
	s_nop 0
	buffer_store_dword v116, off, s[24:27], 0 offset:132 ; 4-byte Folded Spill
	buffer_store_dword v117, off, s[24:27], 0 offset:136 ; 4-byte Folded Spill
	buffer_store_dword v118, off, s[24:27], 0 offset:140 ; 4-byte Folded Spill
	v_mul_f64 v[20:21], v[46:47], v[121:122]
	v_fma_f64 v[18:19], v[46:47], v[119:120], v[18:19]
	buffer_store_dword v119, off, s[24:27], 0 offset:144 ; 4-byte Folded Spill
	s_nop 0
	buffer_store_dword v120, off, s[24:27], 0 offset:148 ; 4-byte Folded Spill
	buffer_store_dword v121, off, s[24:27], 0 offset:152 ; 4-byte Folded Spill
	buffer_store_dword v122, off, s[24:27], 0 offset:156 ; 4-byte Folded Spill
	;; [unrolled: 7-line block ×6, first 2 shown]
	v_fma_f64 v[38:39], v[66:67], v[139:140], v[38:39]
	v_fma_f64 v[12:13], v[40:41], v[111:112], -v[12:13]
	v_mul_f64 v[40:41], v[66:67], v[141:142]
	buffer_store_dword v139, off, s[24:27], 0 offset:224 ; 4-byte Folded Spill
	s_nop 0
	buffer_store_dword v140, off, s[24:27], 0 offset:228 ; 4-byte Folded Spill
	buffer_store_dword v141, off, s[24:27], 0 offset:232 ; 4-byte Folded Spill
	;; [unrolled: 1-line block ×3, first 2 shown]
	v_fma_f64 v[16:17], v[44:45], v[115:116], -v[16:17]
	v_fma_f64 v[20:21], v[48:49], v[119:120], -v[20:21]
	;; [unrolled: 1-line block ×7, first 2 shown]
	ds_write_b128 v96, v[10:13] offset:14800
	ds_write_b128 v96, v[14:17] offset:21200
	;; [unrolled: 1-line block ×8, first 2 shown]
	s_and_saveexec_b64 s[18:19], s[0:1]
	s_cbranch_execz .LBB0_3
; %bb.2:
	buffer_load_dword v13, off, s[24:27], 0 ; 4-byte Folded Reload
	v_mov_b32_e32 v10, s17
	v_add_co_u32_e32 v16, vcc, s16, v8
	v_addc_co_u32_e32 v17, vcc, v9, v10, vcc
	v_add_co_u32_e32 v12, vcc, 0x1000, v97
	v_mov_b32_e32 v36, s15
	global_load_dwordx4 v[8:11], v[16:17], off
	s_waitcnt vmcnt(1)
	v_addc_co_u32_e32 v13, vcc, 0, v13, vcc
	v_add_co_u32_e32 v20, vcc, s14, v16
	v_addc_co_u32_e32 v21, vcc, v17, v36, vcc
	v_add_co_u32_e32 v32, vcc, s14, v20
	global_load_dwordx4 v[12:15], v[12:13], off offset:1904
	v_addc_co_u32_e32 v33, vcc, v21, v36, vcc
	global_load_dwordx4 v[16:19], v[20:21], off
	s_nop 0
	global_load_dwordx4 v[20:23], v[32:33], off
	global_load_dwordx4 v[24:27], v[0:1], off offset:112
	global_load_dwordx4 v[28:31], v[4:5], off offset:2416
	v_add_co_u32_e32 v0, vcc, s14, v32
	v_addc_co_u32_e32 v1, vcc, v33, v36, vcc
	global_load_dwordx4 v[32:35], v[0:1], off
	v_add_co_u32_e32 v0, vcc, s14, v0
	v_addc_co_u32_e32 v1, vcc, v1, v36, vcc
	global_load_dwordx4 v[36:39], v[2:3], off offset:624
	global_load_dwordx4 v[40:43], v[6:7], off offset:2928
	global_load_dwordx4 v[44:47], v[0:1], off
	s_waitcnt vmcnt(8)
	v_mul_f64 v[0:1], v[10:11], v[14:15]
	v_mul_f64 v[2:3], v[8:9], v[14:15]
	s_waitcnt vmcnt(5)
	v_mul_f64 v[4:5], v[18:19], v[26:27]
	v_mul_f64 v[6:7], v[16:17], v[26:27]
	;; [unrolled: 3-line block ×3, first 2 shown]
	v_fma_f64 v[0:1], v[8:9], v[12:13], v[0:1]
	v_fma_f64 v[2:3], v[10:11], v[12:13], -v[2:3]
	v_fma_f64 v[4:5], v[16:17], v[24:25], v[4:5]
	s_waitcnt vmcnt(2)
	v_mul_f64 v[30:31], v[34:35], v[38:39]
	v_mul_f64 v[38:39], v[32:33], v[38:39]
	s_waitcnt vmcnt(0)
	v_mul_f64 v[48:49], v[46:47], v[42:43]
	v_mul_f64 v[42:43], v[44:45], v[42:43]
	v_fma_f64 v[6:7], v[18:19], v[24:25], -v[6:7]
	v_fma_f64 v[8:9], v[20:21], v[28:29], v[14:15]
	v_fma_f64 v[10:11], v[22:23], v[28:29], -v[26:27]
	v_fma_f64 v[12:13], v[32:33], v[36:37], v[30:31]
	;; [unrolled: 2-line block ×3, first 2 shown]
	v_fma_f64 v[18:19], v[46:47], v[40:41], -v[42:43]
	ds_write_b128 v96, v[0:3] offset:6000
	ds_write_b128 v96, v[4:7] offset:12400
	;; [unrolled: 1-line block ×5, first 2 shown]
.LBB0_3:
	s_or_b64 exec, exec, s[18:19]
	s_waitcnt vmcnt(0) lgkmcnt(0)
	s_barrier
	ds_read_b128 v[78:81], v96
	ds_read_b128 v[58:61], v96 offset:2000
	ds_read_b128 v[66:69], v96 offset:12800
	;; [unrolled: 1-line block ×14, first 2 shown]
                                        ; implicit-def: $vgpr0_vgpr1
                                        ; implicit-def: $vgpr4_vgpr5
                                        ; implicit-def: $vgpr8_vgpr9
                                        ; implicit-def: $vgpr12_vgpr13
                                        ; implicit-def: $vgpr22_vgpr23
	s_and_saveexec_b64 s[14:15], s[0:1]
	s_cbranch_execz .LBB0_5
; %bb.4:
	ds_read_b128 v[0:3], v96 offset:6000
	ds_read_b128 v[4:7], v96 offset:12400
	;; [unrolled: 1-line block ×5, first 2 shown]
.LBB0_5:
	s_or_b64 exec, exec, s[14:15]
	s_waitcnt lgkmcnt(8)
	v_add_f64 v[20:21], v[78:79], v[70:71]
	s_waitcnt lgkmcnt(4)
	v_add_f64 v[82:83], v[66:67], v[74:75]
	v_add_f64 v[84:85], v[72:73], -v[64:65]
	v_add_f64 v[94:95], v[70:71], v[62:63]
	s_mov_b32 s14, 0x134454ff
	s_mov_b32 s15, 0x3fee6f0e
	v_add_f64 v[88:89], v[68:69], -v[76:77]
	v_add_f64 v[90:91], v[70:71], -v[66:67]
	v_add_f64 v[20:21], v[20:21], v[66:67]
	v_fma_f64 v[86:87], v[82:83], -0.5, v[78:79]
	v_add_f64 v[92:93], v[62:63], -v[74:75]
	s_movk_i32 s16, 0xfa
	s_movk_i32 s17, 0x177
	v_add_co_u32_e32 v99, vcc, s16, v110
	v_add_co_u32_e32 v98, vcc, s17, v110
	v_add_f64 v[20:21], v[20:21], v[74:75]
	v_fma_f64 v[100:101], v[84:85], s[14:15], v[86:87]
	s_mov_b32 s16, 0x4755a5e
	s_mov_b32 s17, 0x3fe2cf23
	;; [unrolled: 1-line block ×4, first 2 shown]
	v_add_f64 v[90:91], v[90:91], v[92:93]
	v_add_f64 v[92:93], v[68:69], v[76:77]
	v_add_f64 v[82:83], v[20:21], v[62:63]
	v_fma_f64 v[20:21], v[94:95], -0.5, v[78:79]
	v_fma_f64 v[78:79], v[88:89], s[16:17], v[100:101]
	v_fma_f64 v[86:87], v[84:85], s[18:19], v[86:87]
	v_add_f64 v[100:101], v[66:67], -v[70:71]
	v_add_f64 v[102:103], v[74:75], -v[62:63]
	s_mov_b32 s21, 0xbfe2cf23
	s_mov_b32 s20, s16
	v_add_f64 v[104:105], v[80:81], v[72:73]
	v_fma_f64 v[94:95], v[88:89], s[18:19], v[20:21]
	v_fma_f64 v[20:21], v[88:89], s[14:15], v[20:21]
	v_fma_f64 v[92:93], v[92:93], -0.5, v[80:81]
	v_add_f64 v[106:107], v[70:71], -v[62:63]
	v_fma_f64 v[70:71], v[88:89], s[20:21], v[86:87]
	v_add_f64 v[88:89], v[100:101], v[102:103]
	s_mov_b32 s22, 0x372fe950
	s_mov_b32 s23, 0x3fd3c6ef
	v_fma_f64 v[86:87], v[84:85], s[16:17], v[94:95]
	v_add_f64 v[94:95], v[72:73], v[64:65]
	v_fma_f64 v[20:21], v[84:85], s[20:21], v[20:21]
	v_add_f64 v[84:85], v[104:105], v[68:69]
	v_fma_f64 v[100:101], v[106:107], s[18:19], v[92:93]
	v_add_f64 v[102:103], v[66:67], -v[74:75]
	v_fma_f64 v[62:63], v[90:91], s[22:23], v[78:79]
	v_fma_f64 v[66:67], v[90:91], s[22:23], v[70:71]
	;; [unrolled: 1-line block ×3, first 2 shown]
	v_fma_f64 v[78:79], v[94:95], -0.5, v[80:81]
	s_waitcnt lgkmcnt(2)
	v_add_f64 v[86:87], v[42:43], v[54:55]
	v_fma_f64 v[90:91], v[106:107], s[14:15], v[92:93]
	v_fma_f64 v[74:75], v[88:89], s[22:23], v[20:21]
	v_add_f64 v[20:21], v[84:85], v[76:77]
	v_fma_f64 v[80:81], v[102:103], s[20:21], v[100:101]
	v_add_f64 v[84:85], v[72:73], -v[68:69]
	v_add_f64 v[88:89], v[64:65], -v[76:77]
	v_fma_f64 v[92:93], v[102:103], s[14:15], v[78:79]
	v_add_f64 v[68:69], v[68:69], -v[72:73]
	v_add_f64 v[72:73], v[76:77], -v[64:65]
	v_fma_f64 v[76:77], v[102:103], s[18:19], v[78:79]
	v_add_f64 v[78:79], v[58:59], v[50:51]
	v_fma_f64 v[86:87], v[86:87], -0.5, v[58:59]
	v_add_f64 v[94:95], v[52:53], -v[48:49]
	v_fma_f64 v[90:91], v[102:103], s[16:17], v[90:91]
	v_add_f64 v[102:103], v[50:51], v[46:47]
	v_add_f64 v[88:89], v[84:85], v[88:89]
	v_fma_f64 v[92:93], v[106:107], s[20:21], v[92:93]
	v_add_f64 v[100:101], v[68:69], v[72:73]
	v_fma_f64 v[76:77], v[106:107], s[16:17], v[76:77]
	;; [unrolled: 2-line block ×3, first 2 shown]
	v_add_f64 v[106:107], v[44:45], -v[56:57]
	v_add_f64 v[84:85], v[20:21], v[64:65]
	v_fma_f64 v[20:21], v[102:103], -0.5, v[58:59]
	v_fma_f64 v[64:65], v[88:89], s[22:23], v[80:81]
	v_fma_f64 v[68:69], v[88:89], s[22:23], v[90:91]
	;; [unrolled: 1-line block ×4, first 2 shown]
	v_add_f64 v[58:59], v[78:79], v[54:55]
	v_fma_f64 v[78:79], v[106:107], s[16:17], v[104:105]
	v_add_f64 v[80:81], v[50:51], -v[42:43]
	v_add_f64 v[88:89], v[60:61], v[52:53]
	v_add_f64 v[92:93], v[46:47], -v[54:55]
	v_fma_f64 v[86:87], v[94:95], s[18:19], v[86:87]
	v_fma_f64 v[100:101], v[106:107], s[18:19], v[20:21]
	v_add_f64 v[102:103], v[42:43], -v[50:51]
	v_add_f64 v[104:105], v[54:55], -v[46:47]
	v_fma_f64 v[20:21], v[106:107], s[14:15], v[20:21]
	v_add_f64 v[90:91], v[44:45], v[56:57]
	v_add_f64 v[88:89], v[88:89], v[44:45]
	v_add_f64 v[108:109], v[50:51], -v[46:47]
	v_add_f64 v[50:51], v[80:81], v[92:93]
	v_fma_f64 v[80:81], v[106:107], s[20:21], v[86:87]
	v_fma_f64 v[86:87], v[94:95], s[16:17], v[100:101]
	v_add_f64 v[92:93], v[102:103], v[104:105]
	v_fma_f64 v[20:21], v[94:95], s[20:21], v[20:21]
	v_add_f64 v[94:95], v[52:53], v[48:49]
	v_fma_f64 v[90:91], v[90:91], -0.5, v[60:61]
	v_add_f64 v[88:89], v[88:89], v[56:57]
	v_add_f64 v[102:103], v[42:43], -v[54:55]
	v_add_f64 v[58:59], v[58:59], v[46:47]
	v_fma_f64 v[42:43], v[50:51], s[22:23], v[78:79]
	v_fma_f64 v[46:47], v[50:51], s[22:23], v[80:81]
	;; [unrolled: 1-line block ×3, first 2 shown]
	v_fma_f64 v[20:21], v[94:95], -0.5, v[60:61]
	v_fma_f64 v[100:101], v[108:109], s[18:19], v[90:91]
	v_fma_f64 v[50:51], v[92:93], s[22:23], v[86:87]
	v_add_f64 v[60:61], v[88:89], v[48:49]
	v_add_f64 v[80:81], v[52:53], -v[44:45]
	v_add_f64 v[86:87], v[48:49], -v[56:57]
	v_add_f64 v[88:89], v[38:39], v[16:17]
	v_fma_f64 v[90:91], v[108:109], s[14:15], v[90:91]
	s_waitcnt lgkmcnt(1)
	v_add_f64 v[92:93], v[26:27], v[30:31]
	v_fma_f64 v[94:95], v[102:103], s[14:15], v[20:21]
	v_add_f64 v[44:45], v[44:45], -v[52:53]
	v_add_f64 v[48:49], v[56:57], -v[48:49]
	v_fma_f64 v[20:21], v[102:103], s[18:19], v[20:21]
	v_add_f64 v[52:53], v[80:81], v[86:87]
	v_add_f64 v[56:57], v[88:89], v[26:27]
	v_fma_f64 v[80:81], v[102:103], s[16:17], v[90:91]
	v_fma_f64 v[86:87], v[92:93], -0.5, v[38:39]
	v_fma_f64 v[90:91], v[108:109], s[20:21], v[94:95]
	s_waitcnt lgkmcnt(0)
	v_add_f64 v[94:95], v[16:17], v[34:35]
	v_add_f64 v[92:93], v[44:45], v[48:49]
	v_fma_f64 v[20:21], v[108:109], s[16:17], v[20:21]
	v_fma_f64 v[78:79], v[102:103], s[20:21], v[100:101]
	v_add_f64 v[88:89], v[18:19], -v[36:37]
	v_add_f64 v[100:101], v[56:57], v[30:31]
	v_fma_f64 v[48:49], v[52:53], s[22:23], v[80:81]
	v_add_f64 v[80:81], v[28:29], -v[32:33]
	v_add_f64 v[104:105], v[26:27], -v[16:17]
	;; [unrolled: 1-line block ×3, first 2 shown]
	v_fma_f64 v[56:57], v[92:93], s[22:23], v[20:21]
	v_fma_f64 v[20:21], v[94:95], -0.5, v[38:39]
	v_fma_f64 v[44:45], v[52:53], s[22:23], v[78:79]
	v_fma_f64 v[78:79], v[88:89], s[14:15], v[86:87]
	;; [unrolled: 1-line block ×3, first 2 shown]
	v_add_f64 v[38:39], v[100:101], v[34:35]
	v_add_f64 v[90:91], v[16:17], -v[26:27]
	v_add_f64 v[92:93], v[34:35], -v[30:31]
	v_fma_f64 v[86:87], v[88:89], s[18:19], v[86:87]
	v_add_f64 v[94:95], v[40:41], v[18:19]
	v_add_f64 v[100:101], v[28:29], v[32:33]
	v_fma_f64 v[102:103], v[80:81], s[18:19], v[20:21]
	v_fma_f64 v[20:21], v[80:81], s[14:15], v[20:21]
	;; [unrolled: 1-line block ×3, first 2 shown]
	v_add_f64 v[16:17], v[16:17], -v[34:35]
	v_add_f64 v[90:91], v[90:91], v[92:93]
	v_fma_f64 v[86:87], v[80:81], s[20:21], v[86:87]
	v_add_f64 v[80:81], v[94:95], v[28:29]
	v_fma_f64 v[92:93], v[100:101], -0.5, v[40:41]
	v_fma_f64 v[94:95], v[88:89], s[16:17], v[102:103]
	v_add_f64 v[100:101], v[104:105], v[106:107]
	v_fma_f64 v[20:21], v[88:89], s[20:21], v[20:21]
	v_add_f64 v[88:89], v[18:19], v[36:37]
	v_fma_f64 v[34:35], v[90:91], s[22:23], v[78:79]
	v_fma_f64 v[78:79], v[90:91], s[22:23], v[86:87]
	v_add_f64 v[80:81], v[80:81], v[32:33]
	v_fma_f64 v[102:103], v[16:17], s[18:19], v[92:93]
	v_add_f64 v[26:27], v[26:27], -v[30:31]
	v_add_f64 v[30:31], v[8:9], v[12:13]
	v_fma_f64 v[90:91], v[100:101], s[22:23], v[20:21]
	v_fma_f64 v[20:21], v[88:89], -0.5, v[40:41]
	v_add_f64 v[88:89], v[0:1], v[4:5]
	v_fma_f64 v[86:87], v[100:101], s[22:23], v[94:95]
	v_add_f64 v[94:95], v[18:19], -v[28:29]
	v_add_f64 v[104:105], v[36:37], -v[32:33]
	v_add_f64 v[40:41], v[80:81], v[36:37]
	v_fma_f64 v[80:81], v[26:27], s[20:21], v[102:103]
	v_fma_f64 v[30:31], v[30:31], -0.5, v[0:1]
	v_add_f64 v[100:101], v[6:7], -v[24:25]
	v_fma_f64 v[92:93], v[16:17], s[14:15], v[92:93]
	v_fma_f64 v[102:103], v[26:27], s[14:15], v[20:21]
	v_add_f64 v[18:19], v[28:29], -v[18:19]
	v_add_f64 v[28:29], v[32:33], -v[36:37]
	v_fma_f64 v[20:21], v[26:27], s[18:19], v[20:21]
	v_add_f64 v[32:33], v[88:89], v[8:9]
	v_add_f64 v[94:95], v[94:95], v[104:105]
	v_fma_f64 v[36:37], v[100:101], s[14:15], v[30:31]
	v_add_f64 v[104:105], v[10:11], -v[14:15]
	v_add_f64 v[88:89], v[4:5], -v[8:9]
	v_add_f64 v[106:107], v[22:23], -v[12:13]
	v_fma_f64 v[26:27], v[26:27], s[16:17], v[92:93]
	v_add_f64 v[92:93], v[4:5], v[22:23]
	v_fma_f64 v[102:103], v[16:17], s[20:21], v[102:103]
	v_add_f64 v[18:19], v[18:19], v[28:29]
	;; [unrolled: 2-line block ×4, first 2 shown]
	v_fma_f64 v[36:37], v[94:95], s[22:23], v[80:81]
	v_fma_f64 v[106:107], v[92:93], -0.5, v[0:1]
	v_fma_f64 v[80:81], v[94:95], s[22:23], v[26:27]
	v_fma_f64 v[88:89], v[18:19], s[22:23], v[102:103]
	v_fma_f64 v[92:93], v[18:19], s[22:23], v[16:17]
	v_add_f64 v[0:1], v[20:21], v[22:23]
	v_add_f64 v[16:17], v[10:11], v[14:15]
	v_fma_f64 v[20:21], v[100:101], s[18:19], v[30:31]
	v_add_f64 v[30:31], v[6:7], v[24:25]
	v_fma_f64 v[18:19], v[32:33], s[22:23], v[28:29]
	v_fma_f64 v[26:27], v[104:105], s[18:19], v[106:107]
	v_add_f64 v[28:29], v[8:9], -v[4:5]
	v_add_f64 v[94:95], v[12:13], -v[22:23]
	v_add_f64 v[102:103], v[2:3], v[6:7]
	v_fma_f64 v[16:17], v[16:17], -0.5, v[2:3]
	v_add_f64 v[4:5], v[4:5], -v[22:23]
	v_add_f64 v[8:9], v[8:9], -v[12:13]
	v_fma_f64 v[2:3], v[30:31], -0.5, v[2:3]
	v_fma_f64 v[20:21], v[104:105], s[20:21], v[20:21]
	v_fma_f64 v[22:23], v[100:101], s[16:17], v[26:27]
	v_add_f64 v[12:13], v[28:29], v[94:95]
	v_fma_f64 v[26:27], v[104:105], s[14:15], v[106:107]
	v_add_f64 v[28:29], v[102:103], v[10:11]
	v_fma_f64 v[30:31], v[4:5], s[18:19], v[16:17]
	v_add_f64 v[94:95], v[6:7], -v[10:11]
	v_add_f64 v[102:103], v[24:25], -v[14:15]
	v_fma_f64 v[16:17], v[4:5], s[14:15], v[16:17]
	v_fma_f64 v[104:105], v[8:9], s[14:15], v[2:3]
	v_add_f64 v[6:7], v[10:11], -v[6:7]
	v_add_f64 v[10:11], v[14:15], -v[24:25]
	v_fma_f64 v[2:3], v[8:9], s[18:19], v[2:3]
	v_fma_f64 v[26:27], v[100:101], s[20:21], v[26:27]
	v_add_f64 v[14:15], v[28:29], v[14:15]
	v_fma_f64 v[28:29], v[8:9], s[20:21], v[30:31]
	v_add_f64 v[94:95], v[94:95], v[102:103]
	v_fma_f64 v[8:9], v[8:9], s[16:17], v[16:17]
	v_fma_f64 v[16:17], v[4:5], s[20:21], v[104:105]
	v_add_f64 v[6:7], v[6:7], v[10:11]
	v_fma_f64 v[4:5], v[4:5], s[16:17], v[2:3]
	v_fma_f64 v[30:31], v[32:33], s[22:23], v[20:21]
	;; [unrolled: 1-line block ×4, first 2 shown]
	v_add_f64 v[2:3], v[14:15], v[24:25]
	v_fma_f64 v[20:21], v[94:95], s[22:23], v[28:29]
	v_fma_f64 v[32:33], v[94:95], s[22:23], v[8:9]
	;; [unrolled: 1-line block ×4, first 2 shown]
	s_load_dwordx2 s[4:5], s[4:5], 0x8
	s_movk_i32 s12, 0x7d
	v_add_co_u32_e32 v172, vcc, s12, v110
	v_mul_lo_u16_e32 v4, 5, v110
	v_lshlrev_b32_e32 v100, 4, v4
	v_mul_u32_u24_e32 v4, 5, v172
	v_lshlrev_b32_e32 v101, 4, v4
	v_mul_u32_u24_e32 v4, 5, v99
	;; [unrolled: 2-line block ×3, first 2 shown]
	s_waitcnt lgkmcnt(0)
	s_barrier
	ds_write_b128 v100, v[82:85]
	ds_write_b128 v100, v[62:65] offset:16
	ds_write_b128 v100, v[70:73] offset:32
	ds_write_b128 v100, v[74:77] offset:48
	ds_write_b128 v100, v[66:69] offset:64
	ds_write_b128 v101, v[58:61]
	ds_write_b128 v101, v[42:45] offset:16
	ds_write_b128 v101, v[50:53] offset:32
	ds_write_b128 v101, v[54:57] offset:48
	ds_write_b128 v101, v[46:49] offset:64
	;; [unrolled: 5-line block ×3, first 2 shown]
	s_and_saveexec_b64 s[14:15], s[0:1]
	s_cbranch_execz .LBB0_7
; %bb.6:
	v_lshlrev_b32_e32 v4, 4, v103
	ds_write_b128 v4, v[0:3]
	ds_write_b128 v4, v[18:21] offset:16
	ds_write_b128 v4, v[22:25] offset:32
	;; [unrolled: 1-line block ×4, first 2 shown]
.LBB0_7:
	s_or_b64 exec, exec, s[14:15]
	s_waitcnt lgkmcnt(0)
	s_barrier
	ds_read_b128 v[14:17], v96
	ds_read_b128 v[8:11], v96 offset:2000
	ds_read_b128 v[70:73], v96 offset:12800
	;; [unrolled: 1-line block ×14, first 2 shown]
	s_and_saveexec_b64 s[14:15], s[0:1]
	s_cbranch_execz .LBB0_9
; %bb.8:
	ds_read_b128 v[0:3], v96 offset:6000
	ds_read_b128 v[18:21], v96 offset:12400
	;; [unrolled: 1-line block ×5, first 2 shown]
.LBB0_9:
	s_or_b64 exec, exec, s[14:15]
	s_movk_i32 s12, 0xcd
	v_mul_lo_u16_sdwa v12, v110, s12 dst_sel:DWORD dst_unused:UNUSED_PAD src0_sel:BYTE_0 src1_sel:DWORD
	v_lshrrev_b16_e32 v173, 10, v12
	v_mul_lo_u16_e32 v12, 5, v173
	v_sub_u16_e32 v12, v110, v12
	v_and_b32_e32 v174, 0xff, v12
	v_lshlrev_b32_e32 v12, 6, v174
	global_load_dwordx4 v[82:85], v12, s[4:5] offset:48
	global_load_dwordx4 v[104:107], v12, s[4:5] offset:32
	;; [unrolled: 1-line block ×3, first 2 shown]
	global_load_dwordx4 v[90:93], v12, s[4:5]
	s_mov_b32 s18, 0x134454ff
	s_mov_b32 s19, 0x3fee6f0e
	;; [unrolled: 1-line block ×8, first 2 shown]
	s_waitcnt vmcnt(0) lgkmcnt(8)
	v_mul_f64 v[12:13], v[80:81], v[92:93]
	v_fma_f64 v[164:165], v[78:79], v[90:91], -v[12:13]
	v_mul_f64 v[12:13], v[78:79], v[92:93]
	buffer_store_dword v90, off, s[24:27], 0 offset:288 ; 4-byte Folded Spill
	s_nop 0
	buffer_store_dword v91, off, s[24:27], 0 offset:292 ; 4-byte Folded Spill
	buffer_store_dword v92, off, s[24:27], 0 offset:296 ; 4-byte Folded Spill
	;; [unrolled: 1-line block ×3, first 2 shown]
	v_fma_f64 v[156:157], v[80:81], v[90:91], v[12:13]
	v_mul_f64 v[12:13], v[72:73], v[88:89]
	v_fma_f64 v[166:167], v[70:71], v[86:87], -v[12:13]
	v_mul_f64 v[12:13], v[70:71], v[88:89]
	buffer_store_dword v86, off, s[24:27], 0 offset:272 ; 4-byte Folded Spill
	s_nop 0
	buffer_store_dword v87, off, s[24:27], 0 offset:276 ; 4-byte Folded Spill
	buffer_store_dword v88, off, s[24:27], 0 offset:280 ; 4-byte Folded Spill
	;; [unrolled: 1-line block ×3, first 2 shown]
	v_fma_f64 v[158:159], v[72:73], v[86:87], v[12:13]
	s_waitcnt lgkmcnt(4)
	v_mul_f64 v[12:13], v[76:77], v[106:107]
	v_fma_f64 v[168:169], v[74:75], v[104:105], -v[12:13]
	v_mul_f64 v[12:13], v[74:75], v[106:107]
	v_fma_f64 v[160:161], v[76:77], v[104:105], v[12:13]
	v_mul_f64 v[12:13], v[68:69], v[84:85]
	v_fma_f64 v[170:171], v[66:67], v[82:83], -v[12:13]
	v_mul_f64 v[12:13], v[66:67], v[84:85]
	buffer_store_dword v82, off, s[24:27], 0 offset:256 ; 4-byte Folded Spill
	s_nop 0
	buffer_store_dword v83, off, s[24:27], 0 offset:260 ; 4-byte Folded Spill
	buffer_store_dword v84, off, s[24:27], 0 offset:264 ; 4-byte Folded Spill
	;; [unrolled: 1-line block ×3, first 2 shown]
	v_fma_f64 v[162:163], v[68:69], v[82:83], v[12:13]
	v_mul_lo_u16_sdwa v12, v172, s12 dst_sel:DWORD dst_unused:UNUSED_PAD src0_sel:BYTE_0 src1_sel:DWORD
	v_lshrrev_b16_e32 v175, 10, v12
	v_mul_lo_u16_e32 v12, 5, v175
	v_sub_u16_e32 v12, v172, v12
	v_and_b32_e32 v176, 0xff, v12
	v_lshlrev_b32_e32 v12, 6, v176
	global_load_dwordx4 v[70:73], v12, s[4:5] offset:48
	global_load_dwordx4 v[74:77], v12, s[4:5] offset:32
	;; [unrolled: 1-line block ×3, first 2 shown]
	global_load_dwordx4 v[88:91], v12, s[4:5]
	s_mov_b32 s12, 0xcccd
	s_waitcnt vmcnt(0)
	v_mul_f64 v[12:13], v[64:65], v[90:91]
	v_fma_f64 v[148:149], v[62:63], v[88:89], -v[12:13]
	v_mul_f64 v[12:13], v[62:63], v[90:91]
	v_fma_f64 v[68:69], v[64:65], v[88:89], v[12:13]
	v_mul_f64 v[12:13], v[56:57], v[80:81]
	v_fma_f64 v[150:151], v[54:55], v[78:79], -v[12:13]
	v_mul_f64 v[12:13], v[54:55], v[80:81]
	buffer_store_dword v78, off, s[24:27], 0 offset:336 ; 4-byte Folded Spill
	s_nop 0
	buffer_store_dword v79, off, s[24:27], 0 offset:340 ; 4-byte Folded Spill
	buffer_store_dword v80, off, s[24:27], 0 offset:344 ; 4-byte Folded Spill
	;; [unrolled: 1-line block ×3, first 2 shown]
	v_fma_f64 v[54:55], v[56:57], v[78:79], v[12:13]
	s_waitcnt lgkmcnt(2)
	v_mul_f64 v[12:13], v[60:61], v[76:77]
	v_fma_f64 v[152:153], v[58:59], v[74:75], -v[12:13]
	v_mul_f64 v[12:13], v[58:59], v[76:77]
	buffer_store_dword v74, off, s[24:27], 0 offset:320 ; 4-byte Folded Spill
	s_nop 0
	buffer_store_dword v75, off, s[24:27], 0 offset:324 ; 4-byte Folded Spill
	buffer_store_dword v76, off, s[24:27], 0 offset:328 ; 4-byte Folded Spill
	;; [unrolled: 1-line block ×3, first 2 shown]
	v_fma_f64 v[56:57], v[60:61], v[74:75], v[12:13]
	v_mul_f64 v[12:13], v[52:53], v[72:73]
	v_fma_f64 v[154:155], v[50:51], v[70:71], -v[12:13]
	v_mul_f64 v[12:13], v[50:51], v[72:73]
	buffer_store_dword v70, off, s[24:27], 0 offset:304 ; 4-byte Folded Spill
	s_nop 0
	buffer_store_dword v71, off, s[24:27], 0 offset:308 ; 4-byte Folded Spill
	buffer_store_dword v72, off, s[24:27], 0 offset:312 ; 4-byte Folded Spill
	buffer_store_dword v73, off, s[24:27], 0 offset:316 ; 4-byte Folded Spill
	v_fma_f64 v[50:51], v[52:53], v[70:71], v[12:13]
	v_mul_u32_u24_sdwa v12, v99, s12 dst_sel:DWORD dst_unused:UNUSED_PAD src0_sel:WORD_0 src1_sel:DWORD
	v_lshrrev_b32_e32 v177, 18, v12
	v_mul_lo_u16_e32 v12, 5, v177
	v_sub_u16_e32 v178, v99, v12
	v_lshlrev_b16_e32 v12, 2, v178
	v_lshlrev_b32_e32 v12, 4, v12
	global_load_dwordx4 v[60:63], v12, s[4:5] offset:48
	global_load_dwordx4 v[112:115], v12, s[4:5] offset:32
	global_load_dwordx4 v[116:119], v12, s[4:5] offset:16
	global_load_dwordx4 v[120:123], v12, s[4:5]
	s_waitcnt vmcnt(0)
	v_mul_f64 v[12:13], v[48:49], v[122:123]
	v_fma_f64 v[58:59], v[46:47], v[120:121], -v[12:13]
	v_mul_f64 v[12:13], v[46:47], v[122:123]
	v_add_f64 v[46:47], v[150:151], -v[152:153]
	v_fma_f64 v[84:85], v[48:49], v[120:121], v[12:13]
	v_mul_f64 v[12:13], v[44:45], v[118:119]
	v_fma_f64 v[70:71], v[42:43], v[116:117], -v[12:13]
	v_mul_f64 v[12:13], v[42:43], v[118:119]
	v_add_f64 v[42:43], v[152:153], -v[154:155]
	v_fma_f64 v[86:87], v[44:45], v[116:117], v[12:13]
	s_waitcnt lgkmcnt(1)
	v_mul_f64 v[12:13], v[40:41], v[114:115]
	v_fma_f64 v[144:145], v[38:39], v[112:113], -v[12:13]
	v_mul_f64 v[12:13], v[38:39], v[114:115]
	v_add_f64 v[38:39], v[54:55], -v[56:57]
	v_fma_f64 v[140:141], v[40:41], v[112:113], v[12:13]
	s_waitcnt lgkmcnt(0)
	v_mul_f64 v[12:13], v[36:37], v[62:63]
	v_add_f64 v[40:41], v[154:155], -v[152:153]
	v_fma_f64 v[146:147], v[34:35], v[60:61], -v[12:13]
	v_mul_f64 v[12:13], v[34:35], v[62:63]
	buffer_store_dword v60, off, s[24:27], 0 offset:352 ; 4-byte Folded Spill
	s_nop 0
	buffer_store_dword v61, off, s[24:27], 0 offset:356 ; 4-byte Folded Spill
	buffer_store_dword v62, off, s[24:27], 0 offset:360 ; 4-byte Folded Spill
	;; [unrolled: 1-line block ×3, first 2 shown]
	v_add_f64 v[34:35], v[156:157], -v[158:159]
	v_fma_f64 v[142:143], v[36:37], v[60:61], v[12:13]
	v_mul_u32_u24_sdwa v12, v98, s12 dst_sel:DWORD dst_unused:UNUSED_PAD src0_sel:WORD_0 src1_sel:DWORD
	v_lshrrev_b32_e32 v179, 18, v12
	v_mul_lo_u16_e32 v12, 5, v179
	v_sub_u16_e32 v180, v98, v12
	v_lshlrev_b16_e32 v12, 2, v180
	v_lshlrev_b32_e32 v12, 4, v12
	global_load_dwordx4 v[124:127], v12, s[4:5] offset:48
	global_load_dwordx4 v[128:131], v12, s[4:5] offset:32
	;; [unrolled: 1-line block ×3, first 2 shown]
	global_load_dwordx4 v[136:139], v12, s[4:5]
	v_add_f64 v[36:37], v[162:163], -v[160:161]
	s_waitcnt vmcnt(0)
	s_barrier
	v_add_f64 v[34:35], v[34:35], v[36:37]
	v_add_f64 v[36:37], v[148:149], -v[150:151]
	v_add_f64 v[36:37], v[36:37], v[40:41]
	v_mul_f64 v[12:13], v[20:21], v[138:139]
	v_fma_f64 v[80:81], v[18:19], v[136:137], -v[12:13]
	v_mul_f64 v[12:13], v[18:19], v[138:139]
	v_fma_f64 v[72:73], v[20:21], v[136:137], v[12:13]
	v_mul_f64 v[12:13], v[24:25], v[134:135]
	v_add_f64 v[20:21], v[166:167], v[168:169]
	v_fma_f64 v[18:19], v[22:23], v[132:133], -v[12:13]
	v_mul_f64 v[12:13], v[22:23], v[134:135]
	v_fma_f64 v[20:21], v[20:21], -0.5, v[14:15]
	v_fma_f64 v[74:75], v[24:25], v[132:133], v[12:13]
	v_mul_f64 v[12:13], v[28:29], v[130:131]
	v_add_f64 v[24:25], v[156:157], -v[162:163]
	v_fma_f64 v[22:23], v[26:27], v[128:129], -v[12:13]
	v_mul_f64 v[12:13], v[26:27], v[130:131]
	v_fma_f64 v[26:27], v[24:25], s[18:19], v[20:21]
	v_fma_f64 v[20:21], v[24:25], s[20:21], v[20:21]
	v_fma_f64 v[76:77], v[28:29], v[128:129], v[12:13]
	v_mul_f64 v[12:13], v[32:33], v[126:127]
	v_add_f64 v[28:29], v[164:165], -v[166:167]
	v_fma_f64 v[82:83], v[30:31], v[124:125], -v[12:13]
	v_mul_f64 v[12:13], v[30:31], v[126:127]
	v_add_f64 v[30:31], v[158:159], -v[160:161]
	v_add_f64 v[92:93], v[82:83], -v[22:23]
	v_fma_f64 v[78:79], v[32:33], v[124:125], v[12:13]
	v_add_f64 v[32:33], v[170:171], -v[168:169]
	v_fma_f64 v[20:21], v[30:31], s[22:23], v[20:21]
	v_add_f64 v[12:13], v[14:15], v[164:165]
	v_fma_f64 v[26:27], v[30:31], s[16:17], v[26:27]
	v_add_f64 v[94:95], v[22:23], -v[82:83]
	v_add_f64 v[28:29], v[28:29], v[32:33]
	v_add_f64 v[32:33], v[166:167], -v[168:169]
	v_add_f64 v[12:13], v[12:13], v[166:167]
	v_fma_f64 v[64:65], v[28:29], s[14:15], v[20:21]
	v_add_f64 v[20:21], v[164:165], v[170:171]
	v_fma_f64 v[60:61], v[28:29], s[14:15], v[26:27]
	v_add_f64 v[26:27], v[166:167], -v[164:165]
	v_add_f64 v[28:29], v[168:169], -v[170:171]
	v_add_f64 v[12:13], v[12:13], v[168:169]
	v_fma_f64 v[14:15], v[20:21], -0.5, v[14:15]
	v_add_f64 v[26:27], v[26:27], v[28:29]
	v_add_f64 v[12:13], v[12:13], v[170:171]
	v_fma_f64 v[20:21], v[30:31], s[20:21], v[14:15]
	v_fma_f64 v[14:15], v[30:31], s[18:19], v[14:15]
	;; [unrolled: 1-line block ×5, first 2 shown]
	v_add_f64 v[20:21], v[158:159], v[160:161]
	v_fma_f64 v[24:25], v[26:27], s[14:15], v[14:15]
	v_add_f64 v[26:27], v[164:165], -v[170:171]
	v_add_f64 v[14:15], v[16:17], v[156:157]
	v_fma_f64 v[20:21], v[20:21], -0.5, v[16:17]
	v_add_f64 v[14:15], v[14:15], v[158:159]
	v_fma_f64 v[30:31], v[26:27], s[20:21], v[20:21]
	v_fma_f64 v[20:21], v[26:27], s[18:19], v[20:21]
	v_add_f64 v[14:15], v[14:15], v[160:161]
	v_fma_f64 v[30:31], v[32:33], s[22:23], v[30:31]
	v_fma_f64 v[20:21], v[32:33], s[16:17], v[20:21]
	;; [unrolled: 3-line block ×3, first 2 shown]
	v_add_f64 v[20:21], v[156:157], v[162:163]
	v_add_f64 v[30:31], v[158:159], -v[156:157]
	v_add_f64 v[34:35], v[160:161], -v[162:163]
	v_fma_f64 v[16:17], v[20:21], -0.5, v[16:17]
	v_add_f64 v[34:35], v[30:31], v[34:35]
	v_fma_f64 v[20:21], v[32:33], s[18:19], v[16:17]
	v_fma_f64 v[16:17], v[32:33], s[20:21], v[16:17]
	;; [unrolled: 1-line block ×6, first 2 shown]
	v_add_f64 v[16:17], v[8:9], v[148:149]
	v_add_f64 v[20:21], v[68:69], -v[50:51]
	v_add_f64 v[16:17], v[16:17], v[150:151]
	v_add_f64 v[16:17], v[16:17], v[152:153]
	;; [unrolled: 1-line block ×4, first 2 shown]
	v_fma_f64 v[16:17], v[16:17], -0.5, v[8:9]
	v_fma_f64 v[34:35], v[20:21], s[18:19], v[16:17]
	v_fma_f64 v[16:17], v[20:21], s[20:21], v[16:17]
	v_fma_f64 v[34:35], v[38:39], s[16:17], v[34:35]
	v_fma_f64 v[16:17], v[38:39], s[22:23], v[16:17]
	v_fma_f64 v[40:41], v[36:37], s[14:15], v[34:35]
	v_fma_f64 v[36:37], v[36:37], s[14:15], v[16:17]
	v_add_f64 v[16:17], v[148:149], v[154:155]
	v_add_f64 v[34:35], v[150:151], -v[148:149]
	v_fma_f64 v[8:9], v[16:17], -0.5, v[8:9]
	v_add_f64 v[34:35], v[34:35], v[42:43]
	v_add_f64 v[42:43], v[50:51], -v[56:57]
	v_fma_f64 v[16:17], v[38:39], s[20:21], v[8:9]
	v_fma_f64 v[8:9], v[38:39], s[18:19], v[8:9]
	v_add_f64 v[38:39], v[68:69], -v[54:55]
	v_fma_f64 v[16:17], v[20:21], s[16:17], v[16:17]
	v_fma_f64 v[8:9], v[20:21], s[22:23], v[8:9]
	v_add_f64 v[38:39], v[38:39], v[42:43]
	v_fma_f64 v[48:49], v[34:35], s[14:15], v[16:17]
	v_fma_f64 v[44:45], v[34:35], s[14:15], v[8:9]
	v_add_f64 v[8:9], v[10:11], v[68:69]
	v_add_f64 v[16:17], v[148:149], -v[154:155]
	v_add_f64 v[8:9], v[8:9], v[54:55]
	v_add_f64 v[8:9], v[8:9], v[56:57]
	v_add_f64 v[34:35], v[8:9], v[50:51]
	v_add_f64 v[8:9], v[54:55], v[56:57]
	v_fma_f64 v[8:9], v[8:9], -0.5, v[10:11]
	v_fma_f64 v[20:21], v[16:17], s[20:21], v[8:9]
	v_fma_f64 v[8:9], v[16:17], s[18:19], v[8:9]
	;; [unrolled: 1-line block ×6, first 2 shown]
	v_add_f64 v[8:9], v[68:69], v[50:51]
	v_add_f64 v[20:21], v[54:55], -v[68:69]
	v_add_f64 v[50:51], v[56:57], -v[50:51]
	;; [unrolled: 1-line block ×4, first 2 shown]
	v_fma_f64 v[8:9], v[8:9], -0.5, v[10:11]
	v_add_f64 v[20:21], v[20:21], v[50:51]
	v_add_f64 v[54:55], v[54:55], v[56:57]
	v_fma_f64 v[10:11], v[46:47], s[18:19], v[8:9]
	v_fma_f64 v[8:9], v[46:47], s[20:21], v[8:9]
	;; [unrolled: 1-line block ×6, first 2 shown]
	v_add_f64 v[8:9], v[4:5], v[58:59]
	v_add_f64 v[10:11], v[84:85], -v[142:143]
	v_add_f64 v[20:21], v[86:87], -v[140:141]
	v_add_f64 v[8:9], v[8:9], v[70:71]
	v_add_f64 v[8:9], v[8:9], v[144:145]
	;; [unrolled: 1-line block ×4, first 2 shown]
	v_fma_f64 v[8:9], v[8:9], -0.5, v[4:5]
	v_fma_f64 v[16:17], v[10:11], s[18:19], v[8:9]
	v_fma_f64 v[8:9], v[10:11], s[20:21], v[8:9]
	;; [unrolled: 1-line block ×6, first 2 shown]
	v_add_f64 v[8:9], v[58:59], v[146:147]
	v_add_f64 v[16:17], v[70:71], -v[58:59]
	v_add_f64 v[54:55], v[144:145], -v[146:147]
	v_fma_f64 v[8:9], v[8:9], -0.5, v[4:5]
	v_add_f64 v[16:17], v[16:17], v[54:55]
	v_fma_f64 v[4:5], v[20:21], s[20:21], v[8:9]
	v_fma_f64 v[8:9], v[20:21], s[18:19], v[8:9]
	v_add_f64 v[20:21], v[70:71], -v[144:145]
	v_add_f64 v[70:71], v[142:143], -v[140:141]
	v_fma_f64 v[4:5], v[10:11], s[16:17], v[4:5]
	v_fma_f64 v[8:9], v[10:11], s[22:23], v[8:9]
	v_add_f64 v[10:11], v[58:59], -v[146:147]
	v_add_f64 v[58:59], v[84:85], -v[86:87]
	v_fma_f64 v[4:5], v[16:17], s[14:15], v[4:5]
	v_fma_f64 v[148:149], v[16:17], s[14:15], v[8:9]
	v_add_f64 v[8:9], v[6:7], v[84:85]
	v_add_f64 v[58:59], v[58:59], v[70:71]
	;; [unrolled: 1-line block ×6, first 2 shown]
	v_fma_f64 v[8:9], v[8:9], -0.5, v[6:7]
	v_fma_f64 v[16:17], v[10:11], s[20:21], v[8:9]
	v_fma_f64 v[8:9], v[10:11], s[18:19], v[8:9]
	;; [unrolled: 1-line block ×6, first 2 shown]
	v_add_f64 v[8:9], v[84:85], v[142:143]
	v_add_f64 v[16:17], v[86:87], -v[84:85]
	v_add_f64 v[84:85], v[140:141], -v[142:143]
	;; [unrolled: 1-line block ×3, first 2 shown]
	v_fma_f64 v[8:9], v[8:9], -0.5, v[6:7]
	v_add_f64 v[16:17], v[16:17], v[84:85]
	v_add_f64 v[84:85], v[72:73], -v[78:79]
	v_fma_f64 v[6:7], v[20:21], s[18:19], v[8:9]
	v_fma_f64 v[8:9], v[20:21], s[20:21], v[8:9]
	v_add_f64 v[20:21], v[80:81], -v[18:19]
	v_fma_f64 v[6:7], v[10:11], s[22:23], v[6:7]
	v_fma_f64 v[8:9], v[10:11], s[16:17], v[8:9]
	v_add_f64 v[10:11], v[18:19], v[22:23]
	v_add_f64 v[20:21], v[20:21], v[92:93]
	v_add_f64 v[92:93], v[18:19], -v[80:81]
	v_fma_f64 v[6:7], v[16:17], s[14:15], v[6:7]
	v_fma_f64 v[150:151], v[16:17], s[14:15], v[8:9]
	v_fma_f64 v[10:11], v[10:11], -0.5, v[0:1]
	v_add_f64 v[8:9], v[0:1], v[80:81]
	v_add_f64 v[92:93], v[92:93], v[94:95]
	v_fma_f64 v[16:17], v[84:85], s[18:19], v[10:11]
	v_fma_f64 v[10:11], v[84:85], s[20:21], v[10:11]
	v_add_f64 v[8:9], v[8:9], v[18:19]
	v_fma_f64 v[16:17], v[86:87], s[16:17], v[16:17]
	v_fma_f64 v[10:11], v[86:87], s[22:23], v[10:11]
	v_add_f64 v[8:9], v[8:9], v[22:23]
	v_fma_f64 v[16:17], v[20:21], s[14:15], v[16:17]
	v_fma_f64 v[20:21], v[20:21], s[14:15], v[10:11]
	v_add_f64 v[10:11], v[80:81], v[82:83]
	v_add_f64 v[80:81], v[80:81], -v[82:83]
	v_add_f64 v[8:9], v[8:9], v[82:83]
	v_fma_f64 v[0:1], v[10:11], -0.5, v[0:1]
	v_fma_f64 v[10:11], v[86:87], s[20:21], v[0:1]
	v_fma_f64 v[0:1], v[86:87], s[18:19], v[0:1]
	;; [unrolled: 1-line block ×4, first 2 shown]
	v_add_f64 v[84:85], v[18:19], -v[22:23]
	v_add_f64 v[22:23], v[72:73], -v[74:75]
	v_fma_f64 v[188:189], v[92:93], s[14:15], v[10:11]
	v_fma_f64 v[192:193], v[92:93], s[14:15], v[0:1]
	v_add_f64 v[0:1], v[2:3], v[72:73]
	v_add_f64 v[0:1], v[0:1], v[74:75]
	;; [unrolled: 1-line block ×5, first 2 shown]
	v_fma_f64 v[0:1], v[0:1], -0.5, v[2:3]
	v_fma_f64 v[82:83], v[80:81], s[20:21], v[0:1]
	v_fma_f64 v[0:1], v[80:81], s[18:19], v[0:1]
	;; [unrolled: 1-line block ×3, first 2 shown]
	v_add_f64 v[82:83], v[78:79], -v[76:77]
	v_fma_f64 v[0:1], v[84:85], s[16:17], v[0:1]
	v_add_f64 v[22:23], v[22:23], v[82:83]
	v_fma_f64 v[18:19], v[22:23], s[14:15], v[18:19]
	v_fma_f64 v[22:23], v[22:23], s[14:15], v[0:1]
	v_add_f64 v[0:1], v[72:73], v[78:79]
	v_add_f64 v[72:73], v[74:75], -v[72:73]
	v_add_f64 v[74:75], v[76:77], -v[78:79]
	v_fma_f64 v[0:1], v[0:1], -0.5, v[2:3]
	v_add_f64 v[72:73], v[72:73], v[74:75]
	v_fma_f64 v[2:3], v[84:85], s[18:19], v[0:1]
	v_fma_f64 v[0:1], v[84:85], s[20:21], v[0:1]
	;; [unrolled: 1-line block ×6, first 2 shown]
	v_mul_u32_u24_e32 v0, 25, v173
	v_add_lshl_u32 v0, v0, v174, 4
	ds_write_b128 v0, v[12:15]
	ds_write_b128 v0, v[60:63] offset:80
	ds_write_b128 v0, v[28:31] offset:160
	;; [unrolled: 1-line block ×3, first 2 shown]
	buffer_store_dword v0, off, s[24:27], 0 offset:368 ; 4-byte Folded Spill
	ds_write_b128 v0, v[64:67] offset:320
	v_mul_u32_u24_e32 v0, 25, v175
	v_add_lshl_u32 v0, v0, v176, 4
	ds_write_b128 v0, v[32:35]
	ds_write_b128 v0, v[40:43] offset:80
	ds_write_b128 v0, v[48:51] offset:160
	;; [unrolled: 1-line block ×3, first 2 shown]
	buffer_store_dword v0, off, s[24:27], 0 offset:372 ; 4-byte Folded Spill
	ds_write_b128 v0, v[36:39] offset:320
	v_mad_legacy_u16 v0, v177, 25, v178
	v_lshlrev_b32_e32 v0, 4, v0
	ds_write_b128 v0, v[52:55]
	ds_write_b128 v0, v[68:71] offset:80
	ds_write_b128 v0, v[4:7] offset:160
	;; [unrolled: 1-line block ×3, first 2 shown]
	buffer_store_dword v0, off, s[24:27], 0 offset:376 ; 4-byte Folded Spill
	ds_write_b128 v0, v[56:59] offset:320
	v_mad_legacy_u16 v0, v179, 25, v180
	buffer_store_dword v0, off, s[24:27], 0 offset:380 ; 4-byte Folded Spill
	s_and_saveexec_b64 s[14:15], s[0:1]
	s_cbranch_execz .LBB0_11
; %bb.10:
	buffer_load_dword v0, off, s[24:27], 0 offset:380 ; 4-byte Folded Reload
	s_waitcnt vmcnt(0)
	v_lshlrev_b32_e32 v0, 4, v0
	ds_write_b128 v0, v[8:11]
	ds_write_b128 v0, v[16:19] offset:80
	ds_write_b128 v0, v[188:191] offset:160
	;; [unrolled: 1-line block ×4, first 2 shown]
.LBB0_11:
	s_or_b64 exec, exec, s[14:15]
	s_waitcnt vmcnt(0) lgkmcnt(0)
	s_barrier
	ds_read_b128 v[24:27], v96
	ds_read_b128 v[4:7], v96 offset:2000
	ds_read_b128 v[60:63], v96 offset:12800
	;; [unrolled: 1-line block ×14, first 2 shown]
	s_and_saveexec_b64 s[14:15], s[0:1]
	s_cbranch_execz .LBB0_13
; %bb.12:
	ds_read_b128 v[8:11], v96 offset:6000
	ds_read_b128 v[16:19], v96 offset:12400
	;; [unrolled: 1-line block ×5, first 2 shown]
.LBB0_13:
	s_or_b64 exec, exec, s[14:15]
	v_mov_b32_e32 v74, 41
	v_mul_lo_u16_sdwa v72, v110, v74 dst_sel:DWORD dst_unused:UNUSED_PAD src0_sel:BYTE_0 src1_sel:DWORD
	v_lshrrev_b16_e32 v220, 10, v72
	v_mul_lo_u16_e32 v72, 25, v220
	v_sub_u16_e32 v72, v110, v72
	v_and_b32_e32 v221, 0xff, v72
	v_lshlrev_b32_e32 v72, 6, v221
	global_load_dwordx4 v[140:143], v72, s[4:5] offset:368
	global_load_dwordx4 v[144:147], v72, s[4:5] offset:352
	;; [unrolled: 1-line block ×4, first 2 shown]
	s_movk_i32 s12, 0x47af
	s_mov_b32 s20, 0x134454ff
	s_mov_b32 s21, 0x3fee6f0e
	;; [unrolled: 1-line block ×7, first 2 shown]
	s_waitcnt vmcnt(0) lgkmcnt(8)
	v_mul_f64 v[72:73], v[70:71], v[154:155]
	v_fma_f64 v[216:217], v[68:69], v[152:153], -v[72:73]
	v_mul_f64 v[68:69], v[68:69], v[154:155]
	v_fma_f64 v[204:205], v[70:71], v[152:153], v[68:69]
	v_mul_f64 v[68:69], v[62:63], v[150:151]
	v_fma_f64 v[212:213], v[60:61], v[148:149], -v[68:69]
	v_mul_f64 v[60:61], v[60:61], v[150:151]
	v_fma_f64 v[206:207], v[62:63], v[148:149], v[60:61]
	s_waitcnt lgkmcnt(4)
	v_mul_f64 v[60:61], v[66:67], v[146:147]
	v_fma_f64 v[214:215], v[64:65], v[144:145], -v[60:61]
	v_mul_f64 v[60:61], v[64:65], v[146:147]
	v_fma_f64 v[208:209], v[66:67], v[144:145], v[60:61]
	v_mul_f64 v[60:61], v[58:59], v[142:143]
	v_fma_f64 v[218:219], v[56:57], v[140:141], -v[60:61]
	v_mul_f64 v[56:57], v[56:57], v[142:143]
	v_fma_f64 v[210:211], v[58:59], v[140:141], v[56:57]
	v_mul_lo_u16_sdwa v56, v172, v74 dst_sel:DWORD dst_unused:UNUSED_PAD src0_sel:BYTE_0 src1_sel:DWORD
	v_lshrrev_b16_e32 v222, 10, v56
	v_mul_lo_u16_e32 v56, 25, v222
	v_sub_u16_e32 v56, v172, v56
	v_and_b32_e32 v223, 0xff, v56
	v_lshlrev_b32_e32 v56, 6, v223
	global_load_dwordx4 v[156:159], v56, s[4:5] offset:368
	global_load_dwordx4 v[160:163], v56, s[4:5] offset:352
	;; [unrolled: 1-line block ×4, first 2 shown]
	s_waitcnt vmcnt(0)
	v_mul_f64 v[56:57], v[54:55], v[170:171]
	v_fma_f64 v[56:57], v[52:53], v[168:169], -v[56:57]
	v_mul_f64 v[52:53], v[52:53], v[170:171]
	v_fma_f64 v[52:53], v[54:55], v[168:169], v[52:53]
	v_mul_f64 v[54:55], v[46:47], v[166:167]
	v_fma_f64 v[198:199], v[44:45], v[164:165], -v[54:55]
	v_mul_f64 v[44:45], v[44:45], v[166:167]
	v_fma_f64 v[46:47], v[46:47], v[164:165], v[44:45]
	s_waitcnt lgkmcnt(2)
	v_mul_f64 v[44:45], v[50:51], v[162:163]
	v_fma_f64 v[200:201], v[48:49], v[160:161], -v[44:45]
	v_mul_f64 v[44:45], v[48:49], v[162:163]
	v_add_f64 v[92:93], v[198:199], -v[200:201]
	v_fma_f64 v[50:51], v[50:51], v[160:161], v[44:45]
	v_mul_f64 v[44:45], v[42:43], v[158:159]
	v_fma_f64 v[202:203], v[40:41], v[156:157], -v[44:45]
	v_mul_f64 v[40:41], v[40:41], v[158:159]
	v_add_f64 v[44:45], v[202:203], -v[200:201]
	v_fma_f64 v[54:55], v[42:43], v[156:157], v[40:41]
	v_mul_u32_u24_sdwa v40, v99, s12 dst_sel:DWORD dst_unused:UNUSED_PAD src0_sel:WORD_0 src1_sel:DWORD
	v_sub_u16_sdwa v41, v99, v40 dst_sel:DWORD dst_unused:UNUSED_PAD src0_sel:DWORD src1_sel:WORD_1
	v_lshrrev_b16_e32 v41, 1, v41
	v_add_u16_sdwa v40, v41, v40 dst_sel:DWORD dst_unused:UNUSED_PAD src0_sel:DWORD src1_sel:WORD_1
	v_lshrrev_b16_e32 v224, 4, v40
	v_mul_lo_u16_e32 v40, 25, v224
	v_sub_u16_e32 v99, v99, v40
	v_lshlrev_b16_e32 v40, 6, v99
	v_add_co_u32_e32 v40, vcc, s4, v40
	v_mov_b32_e32 v42, s5
	v_addc_co_u32_e32 v41, vcc, 0, v42, vcc
	global_load_dwordx4 v[172:175], v[40:41], off offset:368
	global_load_dwordx4 v[176:179], v[40:41], off offset:352
	;; [unrolled: 1-line block ×4, first 2 shown]
	v_add_f64 v[48:49], v[200:201], -v[202:203]
	v_add_f64 v[94:95], v[54:55], -v[50:51]
	s_waitcnt vmcnt(0)
	v_mul_f64 v[40:41], v[38:39], v[186:187]
	v_fma_f64 v[58:59], v[36:37], v[184:185], -v[40:41]
	v_mul_f64 v[36:37], v[36:37], v[186:187]
	v_fma_f64 v[76:77], v[38:39], v[184:185], v[36:37]
	v_mul_f64 v[36:37], v[34:35], v[182:183]
	v_fma_f64 v[84:85], v[32:33], v[180:181], -v[36:37]
	v_mul_f64 v[32:33], v[32:33], v[182:183]
	v_fma_f64 v[78:79], v[34:35], v[180:181], v[32:33]
	s_waitcnt lgkmcnt(1)
	v_mul_f64 v[32:33], v[30:31], v[178:179]
	v_fma_f64 v[86:87], v[28:29], v[176:177], -v[32:33]
	v_mul_f64 v[28:29], v[28:29], v[178:179]
	v_fma_f64 v[80:81], v[30:31], v[176:177], v[28:29]
	s_waitcnt lgkmcnt(0)
	v_mul_f64 v[28:29], v[14:15], v[174:175]
	v_fma_f64 v[196:197], v[12:13], v[172:173], -v[28:29]
	v_mul_f64 v[12:13], v[12:13], v[174:175]
	v_fma_f64 v[82:83], v[14:15], v[172:173], v[12:13]
	v_mul_u32_u24_sdwa v12, v98, s12 dst_sel:DWORD dst_unused:UNUSED_PAD src0_sel:WORD_0 src1_sel:DWORD
	v_sub_u16_sdwa v13, v98, v12 dst_sel:DWORD dst_unused:UNUSED_PAD src0_sel:DWORD src1_sel:WORD_1
	v_lshrrev_b16_e32 v13, 1, v13
	v_add_u16_sdwa v12, v13, v12 dst_sel:DWORD dst_unused:UNUSED_PAD src0_sel:DWORD src1_sel:WORD_1
	v_lshrrev_b16_e32 v12, 4, v12
	v_mul_lo_u16_e32 v12, 25, v12
	v_sub_u16_e32 v225, v98, v12
	v_lshlrev_b16_e32 v12, 6, v225
	v_add_co_u32_e32 v12, vcc, s4, v12
	v_addc_co_u32_e32 v13, vcc, 0, v42, vcc
	global_load_dwordx4 v[28:31], v[12:13], off offset:368
	global_load_dwordx4 v[32:35], v[12:13], off offset:352
	;; [unrolled: 1-line block ×4, first 2 shown]
	v_add_f64 v[14:15], v[212:213], v[214:215]
	s_movk_i32 s12, 0x7d
	v_fma_f64 v[14:15], v[14:15], -0.5, v[24:25]
	s_waitcnt vmcnt(0)
	v_mul_f64 v[12:13], v[18:19], v[42:43]
	v_fma_f64 v[60:61], v[16:17], v[40:41], -v[12:13]
	v_mul_f64 v[12:13], v[16:17], v[42:43]
	buffer_store_dword v40, off, s[24:27], 0 offset:448 ; 4-byte Folded Spill
	s_nop 0
	buffer_store_dword v41, off, s[24:27], 0 offset:452 ; 4-byte Folded Spill
	buffer_store_dword v42, off, s[24:27], 0 offset:456 ; 4-byte Folded Spill
	;; [unrolled: 1-line block ×3, first 2 shown]
	v_add_f64 v[42:43], v[46:47], -v[50:51]
	v_fma_f64 v[68:69], v[18:19], v[40:41], v[12:13]
	v_mul_f64 v[12:13], v[190:191], v[38:39]
	v_add_f64 v[18:19], v[204:205], -v[210:211]
	v_add_f64 v[40:41], v[56:57], -v[198:199]
	v_fma_f64 v[62:63], v[188:189], v[36:37], -v[12:13]
	v_mul_f64 v[12:13], v[188:189], v[38:39]
	buffer_store_dword v36, off, s[24:27], 0 offset:432 ; 4-byte Folded Spill
	s_nop 0
	buffer_store_dword v37, off, s[24:27], 0 offset:436 ; 4-byte Folded Spill
	buffer_store_dword v38, off, s[24:27], 0 offset:440 ; 4-byte Folded Spill
	buffer_store_dword v39, off, s[24:27], 0 offset:444 ; 4-byte Folded Spill
	v_fma_f64 v[16:17], v[18:19], s[20:21], v[14:15]
	v_fma_f64 v[14:15], v[18:19], s[18:19], v[14:15]
	v_add_f64 v[38:39], v[208:209], -v[210:211]
	v_add_f64 v[44:45], v[40:41], v[44:45]
	v_fma_f64 v[66:67], v[190:191], v[36:37], v[12:13]
	v_mul_f64 v[12:13], v[194:195], v[34:35]
	v_add_f64 v[36:37], v[210:211], -v[208:209]
	v_fma_f64 v[64:65], v[192:193], v[32:33], -v[12:13]
	v_mul_f64 v[12:13], v[192:193], v[34:35]
	buffer_store_dword v32, off, s[24:27], 0 offset:416 ; 4-byte Folded Spill
	s_nop 0
	buffer_store_dword v33, off, s[24:27], 0 offset:420 ; 4-byte Folded Spill
	buffer_store_dword v34, off, s[24:27], 0 offset:424 ; 4-byte Folded Spill
	buffer_store_dword v35, off, s[24:27], 0 offset:428 ; 4-byte Folded Spill
	v_add_f64 v[34:35], v[212:213], -v[214:215]
	v_fma_f64 v[72:73], v[194:195], v[32:33], v[12:13]
	v_mul_f64 v[12:13], v[22:23], v[30:31]
	v_add_f64 v[32:33], v[216:217], -v[218:219]
	v_fma_f64 v[70:71], v[20:21], v[28:29], -v[12:13]
	v_mul_f64 v[12:13], v[20:21], v[30:31]
	buffer_store_dword v28, off, s[24:27], 0 offset:400 ; 4-byte Folded Spill
	s_nop 0
	buffer_store_dword v29, off, s[24:27], 0 offset:404 ; 4-byte Folded Spill
	buffer_store_dword v30, off, s[24:27], 0 offset:408 ; 4-byte Folded Spill
	;; [unrolled: 1-line block ×3, first 2 shown]
	v_add_f64 v[20:21], v[216:217], -v[212:213]
	v_add_f64 v[30:31], v[214:215], -v[218:219]
	s_waitcnt vmcnt(0)
	s_barrier
	v_fma_f64 v[74:75], v[22:23], v[28:29], v[12:13]
	v_add_f64 v[22:23], v[206:207], -v[208:209]
	v_add_f64 v[28:29], v[218:219], -v[214:215]
	v_add_f64 v[12:13], v[24:25], v[216:217]
	v_fma_f64 v[16:17], v[22:23], s[16:17], v[16:17]
	v_add_f64 v[28:29], v[20:21], v[28:29]
	v_fma_f64 v[14:15], v[22:23], s[22:23], v[14:15]
	;; [unrolled: 2-line block ×3, first 2 shown]
	v_fma_f64 v[16:17], v[28:29], s[14:15], v[14:15]
	v_add_f64 v[14:15], v[216:217], v[218:219]
	v_add_f64 v[28:29], v[212:213], -v[216:217]
	v_add_f64 v[12:13], v[12:13], v[214:215]
	v_fma_f64 v[14:15], v[14:15], -0.5, v[24:25]
	v_add_f64 v[30:31], v[28:29], v[30:31]
	v_add_f64 v[12:13], v[12:13], v[218:219]
	v_fma_f64 v[24:25], v[22:23], s[18:19], v[14:15]
	v_fma_f64 v[14:15], v[22:23], s[20:21], v[14:15]
	;; [unrolled: 1-line block ×4, first 2 shown]
	v_add_f64 v[18:19], v[206:207], v[208:209]
	v_fma_f64 v[28:29], v[30:31], s[14:15], v[24:25]
	v_fma_f64 v[24:25], v[30:31], s[14:15], v[14:15]
	v_fma_f64 v[18:19], v[18:19], -0.5, v[26:27]
	v_add_f64 v[30:31], v[204:205], -v[206:207]
	v_add_f64 v[14:15], v[26:27], v[204:205]
	v_fma_f64 v[22:23], v[32:33], s[18:19], v[18:19]
	v_fma_f64 v[18:19], v[32:33], s[20:21], v[18:19]
	v_add_f64 v[30:31], v[30:31], v[36:37]
	v_add_f64 v[36:37], v[206:207], -v[204:205]
	v_add_f64 v[14:15], v[14:15], v[206:207]
	v_fma_f64 v[22:23], v[34:35], s[22:23], v[22:23]
	v_fma_f64 v[18:19], v[34:35], s[16:17], v[18:19]
	v_add_f64 v[36:37], v[36:37], v[38:39]
	;; [unrolled: 5-line block ×3, first 2 shown]
	v_add_f64 v[14:15], v[14:15], v[210:211]
	v_fma_f64 v[26:27], v[30:31], -0.5, v[26:27]
	v_fma_f64 v[30:31], v[34:35], s[20:21], v[26:27]
	v_fma_f64 v[26:27], v[34:35], s[18:19], v[26:27]
	v_add_f64 v[34:35], v[198:199], v[200:201]
	v_fma_f64 v[30:31], v[32:33], s[22:23], v[30:31]
	v_fma_f64 v[26:27], v[32:33], s[16:17], v[26:27]
	v_fma_f64 v[34:35], v[34:35], -0.5, v[4:5]
	v_add_f64 v[32:33], v[4:5], v[56:57]
	v_fma_f64 v[30:31], v[36:37], s[14:15], v[30:31]
	v_fma_f64 v[26:27], v[36:37], s[14:15], v[26:27]
	;; [unrolled: 1-line block ×4, first 2 shown]
	v_add_f64 v[32:33], v[32:33], v[198:199]
	v_fma_f64 v[36:37], v[42:43], s[16:17], v[36:37]
	v_fma_f64 v[34:35], v[42:43], s[22:23], v[34:35]
	v_add_f64 v[32:33], v[32:33], v[200:201]
	v_fma_f64 v[40:41], v[44:45], s[14:15], v[36:37]
	v_fma_f64 v[36:37], v[44:45], s[14:15], v[34:35]
	v_add_f64 v[34:35], v[56:57], v[202:203]
	v_add_f64 v[44:45], v[198:199], -v[56:57]
	v_add_f64 v[56:57], v[56:57], -v[202:203]
	v_add_f64 v[32:33], v[32:33], v[202:203]
	v_fma_f64 v[4:5], v[34:35], -0.5, v[4:5]
	v_add_f64 v[44:45], v[44:45], v[48:49]
	v_fma_f64 v[34:35], v[42:43], s[18:19], v[4:5]
	v_fma_f64 v[4:5], v[42:43], s[20:21], v[4:5]
	v_add_f64 v[42:43], v[52:53], -v[46:47]
	v_fma_f64 v[34:35], v[38:39], s[16:17], v[34:35]
	v_fma_f64 v[4:5], v[38:39], s[22:23], v[4:5]
	v_add_f64 v[94:95], v[42:43], v[94:95]
	v_fma_f64 v[48:49], v[44:45], s[14:15], v[34:35]
	v_fma_f64 v[44:45], v[44:45], s[14:15], v[4:5]
	v_add_f64 v[4:5], v[6:7], v[52:53]
	v_add_f64 v[4:5], v[4:5], v[46:47]
	;; [unrolled: 1-line block ×5, first 2 shown]
	v_add_f64 v[46:47], v[46:47], -v[52:53]
	v_add_f64 v[50:51], v[50:51], -v[54:55]
	v_fma_f64 v[4:5], v[4:5], -0.5, v[6:7]
	v_add_f64 v[46:47], v[46:47], v[50:51]
	v_fma_f64 v[38:39], v[56:57], s[18:19], v[4:5]
	v_fma_f64 v[4:5], v[56:57], s[20:21], v[4:5]
	;; [unrolled: 1-line block ×6, first 2 shown]
	v_add_f64 v[4:5], v[52:53], v[54:55]
	v_add_f64 v[94:95], v[196:197], -v[86:87]
	v_fma_f64 v[4:5], v[4:5], -0.5, v[6:7]
	v_fma_f64 v[6:7], v[92:93], s[20:21], v[4:5]
	v_fma_f64 v[4:5], v[92:93], s[18:19], v[4:5]
	v_add_f64 v[92:93], v[78:79], -v[80:81]
	v_fma_f64 v[6:7], v[56:57], s[22:23], v[6:7]
	v_fma_f64 v[4:5], v[56:57], s[16:17], v[4:5]
	v_add_f64 v[56:57], v[58:59], -v[84:85]
	v_fma_f64 v[50:51], v[46:47], s[14:15], v[6:7]
	v_fma_f64 v[46:47], v[46:47], s[14:15], v[4:5]
	v_add_f64 v[4:5], v[0:1], v[58:59]
	v_add_f64 v[6:7], v[76:77], -v[82:83]
	v_add_f64 v[56:57], v[56:57], v[94:95]
	v_add_f64 v[94:95], v[86:87], -v[196:197]
	v_add_f64 v[4:5], v[4:5], v[84:85]
	v_add_f64 v[4:5], v[4:5], v[86:87]
	;; [unrolled: 1-line block ×4, first 2 shown]
	v_fma_f64 v[4:5], v[4:5], -0.5, v[0:1]
	v_fma_f64 v[54:55], v[6:7], s[20:21], v[4:5]
	v_fma_f64 v[4:5], v[6:7], s[18:19], v[4:5]
	;; [unrolled: 1-line block ×6, first 2 shown]
	v_add_f64 v[4:5], v[58:59], v[196:197]
	v_add_f64 v[54:55], v[84:85], -v[58:59]
	v_add_f64 v[84:85], v[84:85], -v[86:87]
	;; [unrolled: 1-line block ×3, first 2 shown]
	v_fma_f64 v[0:1], v[4:5], -0.5, v[0:1]
	v_add_f64 v[54:55], v[54:55], v[94:95]
	v_fma_f64 v[4:5], v[92:93], s[18:19], v[0:1]
	v_fma_f64 v[0:1], v[92:93], s[20:21], v[0:1]
	v_fma_f64 v[4:5], v[6:7], s[16:17], v[4:5]
	v_fma_f64 v[0:1], v[6:7], s[22:23], v[0:1]
	v_fma_f64 v[192:193], v[54:55], s[14:15], v[4:5]
	v_fma_f64 v[198:199], v[54:55], s[14:15], v[0:1]
	v_add_f64 v[0:1], v[2:3], v[76:77]
	v_add_f64 v[4:5], v[58:59], -v[196:197]
	v_add_f64 v[58:59], v[76:77], -v[78:79]
	v_add_f64 v[0:1], v[0:1], v[78:79]
	v_add_f64 v[58:59], v[58:59], v[86:87]
	;; [unrolled: 1-line block ×5, first 2 shown]
	v_fma_f64 v[0:1], v[0:1], -0.5, v[2:3]
	v_fma_f64 v[6:7], v[4:5], s[18:19], v[0:1]
	v_fma_f64 v[0:1], v[4:5], s[20:21], v[0:1]
	;; [unrolled: 1-line block ×6, first 2 shown]
	v_add_f64 v[0:1], v[76:77], v[82:83]
	v_add_f64 v[6:7], v[78:79], -v[76:77]
	v_add_f64 v[76:77], v[80:81], -v[82:83]
	v_add_f64 v[78:79], v[70:71], -v[64:65]
	v_add_f64 v[80:81], v[68:69], -v[66:67]
	v_add_f64 v[82:83], v[74:75], -v[72:73]
	v_fma_f64 v[0:1], v[0:1], -0.5, v[2:3]
	v_add_f64 v[6:7], v[6:7], v[76:77]
	v_add_f64 v[76:77], v[60:61], -v[62:63]
	v_add_f64 v[80:81], v[80:81], v[82:83]
	v_add_f64 v[82:83], v[72:73], -v[74:75]
	v_fma_f64 v[2:3], v[84:85], s[20:21], v[0:1]
	v_fma_f64 v[0:1], v[84:85], s[18:19], v[0:1]
	v_add_f64 v[76:77], v[76:77], v[78:79]
	v_add_f64 v[78:79], v[64:65], -v[70:71]
	v_fma_f64 v[2:3], v[4:5], s[22:23], v[2:3]
	v_fma_f64 v[0:1], v[4:5], s[16:17], v[0:1]
	;; [unrolled: 1-line block ×4, first 2 shown]
	v_add_f64 v[0:1], v[62:63], v[64:65]
	v_add_f64 v[2:3], v[68:69], -v[74:75]
	v_add_f64 v[6:7], v[66:67], -v[72:73]
	v_fma_f64 v[0:1], v[0:1], -0.5, v[8:9]
	v_fma_f64 v[4:5], v[2:3], s[20:21], v[0:1]
	v_fma_f64 v[0:1], v[2:3], s[18:19], v[0:1]
	;; [unrolled: 1-line block ×6, first 2 shown]
	v_add_f64 v[0:1], v[60:61], v[70:71]
	v_add_f64 v[76:77], v[62:63], -v[60:61]
	v_fma_f64 v[4:5], v[0:1], -0.5, v[8:9]
	v_add_f64 v[76:77], v[76:77], v[78:79]
	v_add_f64 v[78:79], v[62:63], -v[64:65]
	v_fma_f64 v[0:1], v[6:7], s[18:19], v[4:5]
	v_fma_f64 v[4:5], v[6:7], s[20:21], v[4:5]
	v_add_f64 v[6:7], v[60:61], -v[70:71]
	v_fma_f64 v[0:1], v[2:3], s[16:17], v[0:1]
	v_fma_f64 v[2:3], v[2:3], s[22:23], v[4:5]
	;; [unrolled: 1-line block ×4, first 2 shown]
	v_add_f64 v[2:3], v[66:67], v[72:73]
	v_fma_f64 v[2:3], v[2:3], -0.5, v[10:11]
	v_fma_f64 v[76:77], v[6:7], s[18:19], v[2:3]
	v_fma_f64 v[2:3], v[6:7], s[20:21], v[2:3]
	;; [unrolled: 1-line block ×6, first 2 shown]
	v_add_f64 v[2:3], v[68:69], v[74:75]
	v_add_f64 v[80:81], v[66:67], -v[68:69]
	v_fma_f64 v[76:77], v[2:3], -0.5, v[10:11]
	v_add_f64 v[80:81], v[80:81], v[82:83]
	v_fma_f64 v[2:3], v[78:79], s[20:21], v[76:77]
	v_fma_f64 v[76:77], v[78:79], s[18:19], v[76:77]
	;; [unrolled: 1-line block ×4, first 2 shown]
	v_mul_u32_u24_e32 v76, 0x7d, v220
	v_add_lshl_u32 v76, v76, v221, 4
	ds_write_b128 v76, v[12:15]
	ds_write_b128 v76, v[20:23] offset:400
	ds_write_b128 v76, v[28:31] offset:800
	ds_write_b128 v76, v[24:27] offset:1200
	v_mul_u32_u24_e32 v12, 0x7d, v222
	v_add_lshl_u32 v12, v12, v223, 4
	buffer_store_dword v76, off, s[24:27], 0 offset:388 ; 4-byte Folded Spill
	v_fma_f64 v[2:3], v[80:81], s[14:15], v[2:3]
	v_fma_f64 v[6:7], v[80:81], s[14:15], v[6:7]
	ds_write_b128 v76, v[16:19] offset:1600
	ds_write_b128 v12, v[32:35]
	ds_write_b128 v12, v[40:43] offset:400
	ds_write_b128 v12, v[48:51] offset:800
	;; [unrolled: 1-line block ×3, first 2 shown]
	buffer_store_dword v12, off, s[24:27], 0 offset:392 ; 4-byte Folded Spill
	ds_write_b128 v12, v[36:39] offset:1600
	v_mad_legacy_u16 v12, v224, s12, v99
	v_lshlrev_b32_e32 v12, 4, v12
	ds_write_b128 v12, v[52:55]
	ds_write_b128 v12, v[188:191] offset:400
	ds_write_b128 v12, v[192:195] offset:800
	;; [unrolled: 1-line block ×3, first 2 shown]
	buffer_store_dword v12, off, s[24:27], 0 offset:396 ; 4-byte Folded Spill
	ds_write_b128 v12, v[56:59] offset:1600
	v_lshlrev_b32_e32 v12, 4, v225
	buffer_store_dword v12, off, s[24:27], 0 offset:384 ; 4-byte Folded Spill
	s_and_saveexec_b64 s[14:15], s[0:1]
	s_cbranch_execz .LBB0_15
; %bb.14:
	buffer_load_dword v12, off, s[24:27], 0 offset:384 ; 4-byte Folded Reload
	v_add_f64 v[10:11], v[10:11], v[68:69]
	v_add_f64 v[8:9], v[8:9], v[60:61]
	;; [unrolled: 1-line block ×8, first 2 shown]
	s_waitcnt vmcnt(0)
	ds_write_b128 v12, v[248:251] offset:30400
	ds_write_b128 v12, v[0:3] offset:30800
	;; [unrolled: 1-line block ×5, first 2 shown]
.LBB0_15:
	s_or_b64 exec, exec, s[14:15]
	v_mov_b32_e32 v8, s13
	v_mov_b32_e32 v74, s5
	v_addc_co_u32_e64 v28, vcc, 0, v8, s[2:3]
	s_movk_i32 s2, 0xf0
	v_mov_b32_e32 v73, s4
	v_mad_u64_u32 v[73:74], s[2:3], v110, s2, v[73:74]
	s_waitcnt vmcnt(0) lgkmcnt(0)
	s_barrier
	ds_read_b128 v[8:11], v96
	ds_read_b128 v[24:27], v96 offset:2000
	ds_read_b128 v[29:32], v96 offset:4000
	;; [unrolled: 1-line block ×15, first 2 shown]
	buffer_store_dword v110, off, s[24:27], 0 offset:76 ; 4-byte Folded Spill
	global_load_dwordx4 v[188:191], v[73:74], off offset:1968
	global_load_dwordx4 v[192:195], v[73:74], off offset:1952
	;; [unrolled: 1-line block ×15, first 2 shown]
	s_mov_b32 s2, 0x667f3bcd
	s_mov_b32 s3, 0xbfe6a09e
	;; [unrolled: 1-line block ×12, first 2 shown]
	s_waitcnt vmcnt(11) lgkmcnt(14)
	v_mul_f64 v[75:76], v[26:27], v[214:215]
	v_fma_f64 v[75:76], v[24:25], v[212:213], -v[75:76]
	v_mul_f64 v[24:25], v[24:25], v[214:215]
	v_fma_f64 v[77:78], v[26:27], v[212:213], v[24:25]
	s_waitcnt lgkmcnt(13)
	v_mul_f64 v[24:25], v[31:32], v[198:199]
	s_waitcnt lgkmcnt(12)
	v_mul_f64 v[26:27], v[33:34], v[194:195]
	v_fma_f64 v[79:80], v[29:30], v[196:197], -v[24:25]
	v_mul_f64 v[24:25], v[29:30], v[198:199]
	v_fma_f64 v[26:27], v[35:36], v[192:193], v[26:27]
	v_fma_f64 v[29:30], v[31:32], v[196:197], v[24:25]
	v_mul_f64 v[24:25], v[35:36], v[194:195]
	s_waitcnt lgkmcnt(11)
	v_mul_f64 v[31:32], v[39:40], v[190:191]
	s_waitcnt vmcnt(7) lgkmcnt(10)
	v_mul_f64 v[35:36], v[43:44], v[230:231]
	v_fma_f64 v[24:25], v[33:34], v[192:193], -v[24:25]
	v_fma_f64 v[31:32], v[37:38], v[188:189], -v[31:32]
	v_mul_f64 v[33:34], v[37:38], v[190:191]
	v_mul_f64 v[37:38], v[41:42], v[230:231]
	v_fma_f64 v[35:36], v[41:42], v[228:229], -v[35:36]
	s_waitcnt lgkmcnt(9)
	v_mul_f64 v[41:42], v[45:46], v[210:211]
	v_fma_f64 v[33:34], v[39:40], v[188:189], v[33:34]
	v_fma_f64 v[37:38], v[43:44], v[228:229], v[37:38]
	v_mul_f64 v[39:40], v[47:48], v[210:211]
	s_waitcnt lgkmcnt(8)
	v_mul_f64 v[43:44], v[51:52], v[206:207]
	v_fma_f64 v[41:42], v[47:48], v[208:209], v[41:42]
	s_waitcnt lgkmcnt(7)
	v_mul_f64 v[47:48], v[55:56], v[202:203]
	v_fma_f64 v[39:40], v[45:46], v[208:209], -v[39:40]
	v_fma_f64 v[43:44], v[49:50], v[204:205], -v[43:44]
	v_mul_f64 v[45:46], v[49:50], v[206:207]
	v_mul_f64 v[49:50], v[53:54], v[202:203]
	v_fma_f64 v[47:48], v[53:54], v[200:201], -v[47:48]
	s_waitcnt vmcnt(3) lgkmcnt(6)
	v_mul_f64 v[53:54], v[57:58], v[242:243]
	v_fma_f64 v[45:46], v[51:52], v[204:205], v[45:46]
	v_fma_f64 v[49:50], v[55:56], v[200:201], v[49:50]
	v_mul_f64 v[51:52], v[59:60], v[242:243]
	s_waitcnt lgkmcnt(5)
	v_mul_f64 v[55:56], v[63:64], v[226:227]
	v_fma_f64 v[53:54], v[59:60], v[240:241], v[53:54]
	s_waitcnt lgkmcnt(4)
	v_mul_f64 v[59:60], v[67:68], v[222:223]
	v_fma_f64 v[51:52], v[57:58], v[240:241], -v[51:52]
	v_fma_f64 v[55:56], v[61:62], v[224:225], -v[55:56]
	v_mul_f64 v[57:58], v[61:62], v[226:227]
	v_mul_f64 v[61:62], v[65:66], v[222:223]
	v_fma_f64 v[59:60], v[65:66], v[220:221], -v[59:60]
	s_waitcnt lgkmcnt(3)
	v_mul_f64 v[65:66], v[69:70], v[218:219]
	v_add_f64 v[53:54], v[77:78], -v[53:54]
	v_add_f64 v[51:52], v[75:76], -v[51:52]
	;; [unrolled: 1-line block ×3, first 2 shown]
	v_fma_f64 v[57:58], v[63:64], v[224:225], v[57:58]
	v_fma_f64 v[61:62], v[67:68], v[220:221], v[61:62]
	s_waitcnt vmcnt(0) lgkmcnt(2)
	v_mul_f64 v[67:68], v[22:23], v[246:247]
	v_mul_f64 v[63:64], v[71:72], v[218:219]
	v_fma_f64 v[65:66], v[71:72], v[216:217], v[65:66]
	v_add_f64 v[59:60], v[24:25], -v[59:60]
	v_fma_f64 v[71:72], v[77:78], 2.0, -v[53:54]
	v_add_f64 v[57:58], v[29:30], -v[57:58]
	v_add_f64 v[61:62], v[26:27], -v[61:62]
	v_fma_f64 v[67:68], v[20:21], v[244:245], -v[67:68]
	v_mul_f64 v[20:21], v[20:21], v[246:247]
	v_fma_f64 v[63:64], v[69:70], v[216:217], -v[63:64]
	v_fma_f64 v[69:70], v[75:76], 2.0, -v[51:52]
	v_fma_f64 v[24:25], v[24:25], 2.0, -v[59:60]
	;; [unrolled: 1-line block ×4, first 2 shown]
	v_add_f64 v[67:68], v[35:36], -v[67:68]
	v_fma_f64 v[20:21], v[22:23], v[244:245], v[20:21]
	s_waitcnt lgkmcnt(1)
	v_mul_f64 v[22:23], v[18:19], v[238:239]
	v_fma_f64 v[35:36], v[35:36], 2.0, -v[67:68]
	v_add_f64 v[20:21], v[37:38], -v[20:21]
	v_fma_f64 v[22:23], v[16:17], v[236:237], -v[22:23]
	v_mul_f64 v[16:17], v[16:17], v[238:239]
	v_add_f64 v[67:68], v[53:54], v[67:68]
	v_add_f64 v[35:36], v[69:70], -v[35:36]
	v_fma_f64 v[37:38], v[37:38], 2.0, -v[20:21]
	v_add_f64 v[22:23], v[39:40], -v[22:23]
	v_fma_f64 v[16:17], v[18:19], v[236:237], v[16:17]
	s_waitcnt lgkmcnt(0)
	v_mul_f64 v[18:19], v[14:15], v[234:235]
	v_add_f64 v[20:21], v[51:52], -v[20:21]
	v_fma_f64 v[53:54], v[53:54], 2.0, -v[67:68]
	v_fma_f64 v[69:70], v[69:70], 2.0, -v[35:36]
	v_add_f64 v[37:38], v[71:72], -v[37:38]
	v_fma_f64 v[39:40], v[39:40], 2.0, -v[22:23]
	v_add_f64 v[16:17], v[41:42], -v[16:17]
	v_fma_f64 v[18:19], v[12:13], v[232:233], -v[18:19]
	v_mul_f64 v[12:13], v[12:13], v[234:235]
	v_add_f64 v[22:23], v[57:58], v[22:23]
	v_fma_f64 v[51:52], v[51:52], 2.0, -v[20:21]
	v_fma_f64 v[71:72], v[71:72], 2.0, -v[37:38]
	;; [unrolled: 1-line block ×3, first 2 shown]
	v_add_f64 v[16:17], v[55:56], -v[16:17]
	v_fma_f64 v[12:13], v[14:15], v[232:233], v[12:13]
	v_add_f64 v[14:15], v[8:9], -v[47:48]
	v_add_f64 v[47:48], v[10:11], -v[49:50]
	;; [unrolled: 1-line block ×4, first 2 shown]
	v_fma_f64 v[65:66], v[79:80], 2.0, -v[55:56]
	v_add_f64 v[41:42], v[29:30], -v[41:42]
	v_fma_f64 v[55:56], v[55:56], 2.0, -v[16:17]
	v_add_f64 v[18:19], v[43:44], -v[18:19]
	v_fma_f64 v[8:9], v[8:9], 2.0, -v[14:15]
	v_fma_f64 v[10:11], v[10:11], 2.0, -v[47:48]
	;; [unrolled: 1-line block ×4, first 2 shown]
	v_add_f64 v[63:64], v[14:15], -v[63:64]
	v_add_f64 v[49:50], v[47:48], v[49:50]
	v_fma_f64 v[29:30], v[29:30], 2.0, -v[41:42]
	v_fma_f64 v[57:58], v[57:58], 2.0, -v[22:23]
	v_add_f64 v[12:13], v[45:46], -v[12:13]
	v_fma_f64 v[43:44], v[43:44], 2.0, -v[18:19]
	v_add_f64 v[31:32], v[8:9], -v[31:32]
	v_add_f64 v[33:34], v[10:11], -v[33:34]
	v_fma_f64 v[14:15], v[14:15], 2.0, -v[63:64]
	v_fma_f64 v[47:48], v[47:48], 2.0, -v[49:50]
	v_add_f64 v[39:40], v[65:66], -v[39:40]
	v_add_f64 v[18:19], v[61:62], v[18:19]
	v_fma_f64 v[45:46], v[45:46], 2.0, -v[12:13]
	v_add_f64 v[43:44], v[24:25], -v[43:44]
	v_add_f64 v[12:13], v[59:60], -v[12:13]
	v_fma_f64 v[10:11], v[10:11], 2.0, -v[33:34]
	v_fma_f64 v[8:9], v[8:9], 2.0, -v[31:32]
	v_fma_f64 v[75:76], v[57:58], s[2:3], v[47:48]
	v_fma_f64 v[65:66], v[65:66], 2.0, -v[39:40]
	v_fma_f64 v[61:62], v[61:62], 2.0, -v[18:19]
	v_add_f64 v[45:46], v[26:27], -v[45:46]
	v_fma_f64 v[24:25], v[24:25], 2.0, -v[43:44]
	v_fma_f64 v[59:60], v[59:60], 2.0, -v[12:13]
	v_add_f64 v[73:74], v[10:11], -v[29:30]
	v_fma_f64 v[29:30], v[55:56], s[2:3], v[14:15]
	v_fma_f64 v[75:76], v[55:56], s[4:5], v[75:76]
	v_add_f64 v[77:78], v[31:32], -v[41:42]
	v_add_f64 v[65:66], v[8:9], -v[65:66]
	v_fma_f64 v[26:27], v[26:27], 2.0, -v[45:46]
	v_add_f64 v[79:80], v[33:34], v[39:40]
	v_fma_f64 v[10:11], v[10:11], 2.0, -v[73:74]
	v_fma_f64 v[57:58], v[57:58], s[2:3], v[29:30]
	v_fma_f64 v[47:48], v[47:48], 2.0, -v[75:76]
	v_fma_f64 v[39:40], v[31:32], 2.0, -v[77:78]
	v_fma_f64 v[31:32], v[22:23], s[4:5], v[49:50]
	v_add_f64 v[85:86], v[71:72], -v[26:27]
	v_fma_f64 v[8:9], v[8:9], 2.0, -v[65:66]
	v_fma_f64 v[26:27], v[12:13], s[4:5], v[20:21]
	v_fma_f64 v[41:42], v[33:34], 2.0, -v[79:80]
	v_fma_f64 v[29:30], v[14:15], 2.0, -v[57:58]
	v_fma_f64 v[14:15], v[16:17], s[4:5], v[63:64]
	v_fma_f64 v[83:84], v[16:17], s[4:5], v[31:32]
	v_fma_f64 v[16:17], v[71:72], 2.0, -v[85:86]
	v_add_f64 v[71:72], v[37:38], v[43:44]
	v_fma_f64 v[92:93], v[18:19], s[2:3], v[26:27]
	v_fma_f64 v[81:82], v[22:23], s[2:3], v[14:15]
	;; [unrolled: 1-line block ×3, first 2 shown]
	v_fma_f64 v[49:50], v[49:50], 2.0, -v[83:84]
	v_fma_f64 v[33:34], v[37:38], 2.0, -v[71:72]
	v_fma_f64 v[43:44], v[20:21], 2.0, -v[92:93]
	v_fma_f64 v[55:56], v[63:64], 2.0, -v[81:82]
	v_add_f64 v[63:64], v[69:70], -v[24:25]
	v_fma_f64 v[24:25], v[61:62], s[2:3], v[53:54]
	v_fma_f64 v[61:62], v[61:62], s[2:3], v[22:23]
	v_fma_f64 v[14:15], v[69:70], 2.0, -v[63:64]
	v_add_f64 v[69:70], v[35:36], -v[45:46]
	v_fma_f64 v[59:60], v[59:60], s[4:5], v[24:25]
	v_fma_f64 v[22:23], v[51:52], 2.0, -v[61:62]
	v_add_f64 v[45:46], v[65:66], -v[85:86]
	v_fma_f64 v[31:32], v[35:36], 2.0, -v[69:70]
	v_fma_f64 v[35:36], v[18:19], s[4:5], v[67:68]
	v_fma_f64 v[24:25], v[53:54], 2.0, -v[59:60]
	v_fma_f64 v[94:95], v[12:13], s[4:5], v[35:36]
	v_add_f64 v[12:13], v[8:9], -v[14:15]
	v_add_f64 v[14:15], v[10:11], -v[16:17]
	v_fma_f64 v[37:38], v[67:68], 2.0, -v[94:95]
	v_fma_f64 v[16:17], v[8:9], 2.0, -v[12:13]
	;; [unrolled: 1-line block ×3, first 2 shown]
	v_fma_f64 v[8:9], v[22:23], s[16:17], v[29:30]
	v_fma_f64 v[10:11], v[24:25], s[16:17], v[47:48]
	;; [unrolled: 1-line block ×6, first 2 shown]
	v_fma_f64 v[24:25], v[29:30], 2.0, -v[20:21]
	v_fma_f64 v[26:27], v[47:48], 2.0, -v[22:23]
	v_fma_f64 v[29:30], v[33:34], s[2:3], v[8:9]
	v_fma_f64 v[31:32], v[31:32], s[4:5], v[10:11]
	;; [unrolled: 1-line block ×4, first 2 shown]
	v_add_f64 v[47:48], v[73:74], v[63:64]
	v_fma_f64 v[33:34], v[39:40], 2.0, -v[29:30]
	v_fma_f64 v[35:36], v[41:42], 2.0, -v[31:32]
	v_fma_f64 v[37:38], v[37:38], s[16:17], v[8:9]
	v_fma_f64 v[39:40], v[43:44], s[18:19], v[10:11]
	;; [unrolled: 1-line block ×4, first 2 shown]
	v_fma_f64 v[51:52], v[73:74], 2.0, -v[47:48]
	v_fma_f64 v[41:42], v[55:56], 2.0, -v[37:38]
	;; [unrolled: 1-line block ×3, first 2 shown]
	v_fma_f64 v[53:54], v[59:60], s[16:17], v[8:9]
	v_fma_f64 v[55:56], v[61:62], s[18:19], v[10:11]
	;; [unrolled: 1-line block ×4, first 2 shown]
	v_fma_f64 v[49:50], v[65:66], 2.0, -v[45:46]
	v_fma_f64 v[57:58], v[57:58], 2.0, -v[53:54]
	;; [unrolled: 1-line block ×3, first 2 shown]
	v_fma_f64 v[61:62], v[71:72], s[2:3], v[8:9]
	v_fma_f64 v[63:64], v[69:70], s[4:5], v[10:11]
	;; [unrolled: 1-line block ×4, first 2 shown]
	s_movk_i32 s2, 0x7d00
	s_movk_i32 s4, 0x7000
	v_fma_f64 v[65:66], v[77:78], 2.0, -v[61:62]
	v_fma_f64 v[67:68], v[79:80], 2.0, -v[63:64]
	v_fma_f64 v[8:9], v[94:95], s[14:15], v[8:9]
	v_fma_f64 v[10:11], v[92:93], s[12:13], v[10:11]
	v_fma_f64 v[69:70], v[81:82], 2.0, -v[8:9]
	v_fma_f64 v[71:72], v[83:84], 2.0, -v[10:11]
	ds_write_b128 v96, v[16:19]
	ds_write_b128 v96, v[24:27] offset:2000
	ds_write_b128 v96, v[33:36] offset:4000
	;; [unrolled: 1-line block ×15, first 2 shown]
	v_add_co_u32_e32 v12, vcc, s2, v97
	v_addc_co_u32_e32 v13, vcc, 0, v28, vcc
	v_add_co_u32_e32 v18, vcc, s4, v97
	v_addc_co_u32_e32 v19, vcc, 0, v28, vcc
	s_waitcnt lgkmcnt(0)
	s_barrier
	global_load_dwordx4 v[18:21], v[18:19], off offset:3328
	ds_read_b128 v[14:17], v96
	s_mov_b32 s2, 0x9000
	v_add_co_u32_e32 v26, vcc, s2, v97
	v_addc_co_u32_e32 v27, vcc, 0, v28, vcc
	s_mov_b32 s2, 0xa000
	v_add_co_u32_e32 v29, vcc, s2, v97
	v_addc_co_u32_e32 v30, vcc, 0, v28, vcc
	;; [unrolled: 3-line block ×4, first 2 shown]
	s_mov_b32 s2, 0xb000
	s_waitcnt vmcnt(0) lgkmcnt(0)
	v_mul_f64 v[22:23], v[16:17], v[20:21]
	v_fma_f64 v[22:23], v[14:15], v[18:19], -v[22:23]
	v_mul_f64 v[14:15], v[14:15], v[20:21]
	v_fma_f64 v[24:25], v[16:17], v[18:19], v[14:15]
	global_load_dwordx4 v[18:21], v[26:27], off offset:1536
	ds_read_b128 v[14:17], v96 offset:6400
	ds_write_b128 v96, v[22:25]
	s_waitcnt vmcnt(0) lgkmcnt(1)
	v_mul_f64 v[22:23], v[16:17], v[20:21]
	v_fma_f64 v[22:23], v[14:15], v[18:19], -v[22:23]
	v_mul_f64 v[14:15], v[14:15], v[20:21]
	v_fma_f64 v[24:25], v[16:17], v[18:19], v[14:15]
	global_load_dwordx4 v[18:21], v[29:30], off offset:3840
	ds_read_b128 v[14:17], v96 offset:12800
	ds_write_b128 v96, v[22:25] offset:6400
	s_waitcnt vmcnt(0) lgkmcnt(1)
	v_mul_f64 v[22:23], v[16:17], v[20:21]
	v_fma_f64 v[22:23], v[14:15], v[18:19], -v[22:23]
	v_mul_f64 v[14:15], v[14:15], v[20:21]
	v_fma_f64 v[24:25], v[16:17], v[18:19], v[14:15]
	global_load_dwordx4 v[18:21], v[31:32], off offset:2048
	ds_read_b128 v[14:17], v96 offset:19200
	ds_write_b128 v96, v[22:25] offset:12800
	;; [unrolled: 8-line block ×4, first 2 shown]
	s_waitcnt vmcnt(0) lgkmcnt(1)
	v_mul_f64 v[22:23], v[16:17], v[20:21]
	v_fma_f64 v[22:23], v[14:15], v[18:19], -v[22:23]
	v_mul_f64 v[14:15], v[14:15], v[20:21]
	v_fma_f64 v[24:25], v[16:17], v[18:19], v[14:15]
	global_load_dwordx4 v[18:21], v[26:27], off offset:3536
	ds_read_b128 v[14:17], v96 offset:8400
	v_add_co_u32_e32 v26, vcc, s2, v97
	v_addc_co_u32_e32 v27, vcc, 0, v28, vcc
	s_mov_b32 s2, 0xd000
	ds_write_b128 v96, v[22:25] offset:2000
	s_waitcnt vmcnt(0) lgkmcnt(1)
	v_mul_f64 v[22:23], v[16:17], v[20:21]
	v_fma_f64 v[22:23], v[14:15], v[18:19], -v[22:23]
	v_mul_f64 v[14:15], v[14:15], v[20:21]
	v_fma_f64 v[24:25], v[16:17], v[18:19], v[14:15]
	global_load_dwordx4 v[18:21], v[26:27], off offset:1744
	ds_read_b128 v[14:17], v96 offset:14800
	ds_write_b128 v96, v[22:25] offset:8400
	s_waitcnt vmcnt(0) lgkmcnt(1)
	v_mul_f64 v[22:23], v[16:17], v[20:21]
	v_fma_f64 v[22:23], v[14:15], v[18:19], -v[22:23]
	v_mul_f64 v[14:15], v[14:15], v[20:21]
	v_fma_f64 v[24:25], v[16:17], v[18:19], v[14:15]
	global_load_dwordx4 v[18:21], v[31:32], off offset:4048
	ds_read_b128 v[14:17], v96 offset:21200
	;; [unrolled: 8-line block ×6, first 2 shown]
	ds_write_b128 v96, v[22:25] offset:10400
	s_waitcnt vmcnt(0) lgkmcnt(1)
	v_mul_f64 v[22:23], v[16:17], v[20:21]
	v_fma_f64 v[22:23], v[14:15], v[18:19], -v[22:23]
	v_mul_f64 v[14:15], v[14:15], v[20:21]
	v_fma_f64 v[24:25], v[16:17], v[18:19], v[14:15]
	v_add_co_u32_e32 v18, vcc, s2, v97
	v_addc_co_u32_e32 v19, vcc, 0, v28, vcc
	global_load_dwordx4 v[18:21], v[18:19], off offset:1952
	ds_read_b128 v[14:17], v96 offset:23200
	s_mov_b32 s2, 0xf000
	ds_write_b128 v96, v[22:25] offset:16800
	s_waitcnt vmcnt(0) lgkmcnt(1)
	v_mul_f64 v[22:23], v[16:17], v[20:21]
	v_fma_f64 v[22:23], v[14:15], v[18:19], -v[22:23]
	v_mul_f64 v[14:15], v[14:15], v[20:21]
	v_fma_f64 v[24:25], v[16:17], v[18:19], v[14:15]
	v_add_co_u32_e32 v18, vcc, s2, v97
	v_addc_co_u32_e32 v19, vcc, 0, v28, vcc
	global_load_dwordx4 v[18:21], v[18:19], off offset:160
	ds_read_b128 v[14:17], v96 offset:29600
	ds_write_b128 v96, v[22:25] offset:23200
	s_waitcnt vmcnt(0) lgkmcnt(1)
	v_mul_f64 v[22:23], v[16:17], v[20:21]
	v_fma_f64 v[22:23], v[14:15], v[18:19], -v[22:23]
	v_mul_f64 v[14:15], v[14:15], v[20:21]
	v_fma_f64 v[24:25], v[16:17], v[18:19], v[14:15]
	ds_write_b128 v96, v[22:25] offset:29600
	s_and_saveexec_b64 s[2:3], s[0:1]
	s_cbranch_execz .LBB0_17
; %bb.16:
	v_add_co_u32_e32 v18, vcc, 0x1000, v12
	v_addc_co_u32_e32 v19, vcc, 0, v13, vcc
	global_load_dwordx4 v[18:21], v[18:19], off offset:1904
	ds_read_b128 v[14:17], v96 offset:6000
	s_movk_i32 s5, 0x3000
	s_waitcnt vmcnt(0) lgkmcnt(0)
	v_mul_f64 v[22:23], v[16:17], v[20:21]
	v_fma_f64 v[22:23], v[14:15], v[18:19], -v[22:23]
	v_mul_f64 v[14:15], v[14:15], v[20:21]
	v_fma_f64 v[24:25], v[16:17], v[18:19], v[14:15]
	v_add_co_u32_e32 v18, vcc, s5, v12
	v_addc_co_u32_e32 v19, vcc, 0, v13, vcc
	global_load_dwordx4 v[18:21], v[18:19], off offset:112
	ds_read_b128 v[14:17], v96 offset:12400
	s_movk_i32 s5, 0x4000
	ds_write_b128 v96, v[22:25] offset:6000
	s_waitcnt vmcnt(0) lgkmcnt(1)
	v_mul_f64 v[22:23], v[16:17], v[20:21]
	v_fma_f64 v[22:23], v[14:15], v[18:19], -v[22:23]
	v_mul_f64 v[14:15], v[14:15], v[20:21]
	v_fma_f64 v[24:25], v[16:17], v[18:19], v[14:15]
	v_add_co_u32_e32 v18, vcc, s5, v12
	v_addc_co_u32_e32 v19, vcc, 0, v13, vcc
	global_load_dwordx4 v[18:21], v[18:19], off offset:2416
	ds_read_b128 v[14:17], v96 offset:18800
	s_movk_i32 s5, 0x6000
	ds_write_b128 v96, v[22:25] offset:12400
	s_waitcnt vmcnt(0) lgkmcnt(1)
	v_mul_f64 v[22:23], v[16:17], v[20:21]
	v_fma_f64 v[22:23], v[14:15], v[18:19], -v[22:23]
	v_mul_f64 v[14:15], v[14:15], v[20:21]
	v_fma_f64 v[24:25], v[16:17], v[18:19], v[14:15]
	v_add_co_u32_e32 v18, vcc, s5, v12
	v_addc_co_u32_e32 v19, vcc, 0, v13, vcc
	global_load_dwordx4 v[18:21], v[18:19], off offset:624
	ds_read_b128 v[14:17], v96 offset:25200
	v_add_co_u32_e32 v12, vcc, s4, v12
	ds_write_b128 v96, v[22:25] offset:18800
	v_addc_co_u32_e32 v13, vcc, 0, v13, vcc
	s_waitcnt vmcnt(0) lgkmcnt(1)
	v_mul_f64 v[22:23], v[16:17], v[20:21]
	v_fma_f64 v[22:23], v[14:15], v[18:19], -v[22:23]
	v_mul_f64 v[14:15], v[14:15], v[20:21]
	v_fma_f64 v[24:25], v[16:17], v[18:19], v[14:15]
	global_load_dwordx4 v[18:21], v[12:13], off offset:2928
	ds_read_b128 v[14:17], v96 offset:31600
	ds_write_b128 v96, v[22:25] offset:25200
	s_waitcnt vmcnt(0) lgkmcnt(1)
	v_mul_f64 v[12:13], v[16:17], v[20:21]
	v_fma_f64 v[12:13], v[14:15], v[18:19], -v[12:13]
	v_mul_f64 v[14:15], v[14:15], v[20:21]
	v_fma_f64 v[14:15], v[16:17], v[18:19], v[14:15]
	ds_write_b128 v96, v[12:15] offset:31600
.LBB0_17:
	s_or_b64 exec, exec, s[2:3]
	s_waitcnt lgkmcnt(0)
	s_barrier
	ds_read_b128 v[44:47], v96
	ds_read_b128 v[64:67], v96 offset:2000
	ds_read_b128 v[50:53], v96 offset:12800
	;; [unrolled: 1-line block ×14, first 2 shown]
	s_and_saveexec_b64 s[2:3], s[0:1]
	s_cbranch_execz .LBB0_19
; %bb.18:
	ds_read_b128 v[8:11], v96 offset:6000
	ds_read_b128 v[248:251], v96 offset:12400
	;; [unrolled: 1-line block ×5, first 2 shown]
.LBB0_19:
	s_or_b64 exec, exec, s[2:3]
	s_waitcnt lgkmcnt(4)
	v_add_f64 v[18:19], v[50:51], v[84:85]
	v_add_f64 v[22:23], v[60:61], -v[56:57]
	s_mov_b32 s12, 0x134454ff
	s_mov_b32 s13, 0xbfee6f0e
	;; [unrolled: 1-line block ×4, first 2 shown]
	v_add_f64 v[26:27], v[52:53], -v[86:87]
	v_add_f64 v[24:25], v[58:59], -v[50:51]
	v_fma_f64 v[18:19], v[18:19], -0.5, v[44:45]
	v_add_f64 v[48:49], v[54:55], -v[84:85]
	s_mov_b32 s4, 0x4755a5e
	s_mov_b32 s5, 0xbfe2cf23
	;; [unrolled: 1-line block ×6, first 2 shown]
	v_fma_f64 v[20:21], v[22:23], s[12:13], v[18:19]
	v_fma_f64 v[18:19], v[22:23], s[14:15], v[18:19]
	v_add_f64 v[48:49], v[24:25], v[48:49]
	v_add_f64 v[16:17], v[44:45], v[58:59]
	v_add_f64 v[62:63], v[84:85], -v[54:55]
	s_waitcnt lgkmcnt(0)
	s_barrier
	v_fma_f64 v[20:21], v[26:27], s[4:5], v[20:21]
	v_fma_f64 v[18:19], v[26:27], s[16:17], v[18:19]
	v_add_f64 v[16:17], v[16:17], v[50:51]
	v_fma_f64 v[24:25], v[48:49], s[2:3], v[20:21]
	v_fma_f64 v[20:21], v[48:49], s[2:3], v[18:19]
	v_add_f64 v[18:19], v[58:59], v[54:55]
	v_add_f64 v[16:17], v[16:17], v[84:85]
	v_add_f64 v[48:49], v[50:51], -v[58:59]
	v_fma_f64 v[18:19], v[18:19], -0.5, v[44:45]
	v_add_f64 v[16:17], v[16:17], v[54:55]
	v_add_f64 v[62:63], v[48:49], v[62:63]
	v_add_f64 v[54:55], v[58:59], -v[54:55]
	v_add_f64 v[58:59], v[50:51], -v[84:85]
	;; [unrolled: 1-line block ×4, first 2 shown]
	v_fma_f64 v[44:45], v[26:27], s[14:15], v[18:19]
	v_fma_f64 v[18:19], v[26:27], s[12:13], v[18:19]
	;; [unrolled: 1-line block ×4, first 2 shown]
	v_add_f64 v[22:23], v[52:53], v[86:87]
	v_fma_f64 v[48:49], v[62:63], s[2:3], v[44:45]
	v_fma_f64 v[44:45], v[62:63], s[2:3], v[18:19]
	v_fma_f64 v[22:23], v[22:23], -0.5, v[46:47]
	v_add_f64 v[62:63], v[56:57], -v[86:87]
	v_add_f64 v[18:19], v[46:47], v[60:61]
	v_fma_f64 v[26:27], v[54:55], s[14:15], v[22:23]
	v_fma_f64 v[22:23], v[54:55], s[12:13], v[22:23]
	v_add_f64 v[50:51], v[50:51], v[62:63]
	v_add_f64 v[18:19], v[18:19], v[52:53]
	v_add_f64 v[52:53], v[52:53], -v[60:61]
	v_add_f64 v[62:63], v[70:71], -v[82:83]
	v_fma_f64 v[26:27], v[58:59], s[16:17], v[26:27]
	v_fma_f64 v[22:23], v[58:59], s[4:5], v[22:23]
	v_add_f64 v[18:19], v[18:19], v[86:87]
	v_fma_f64 v[26:27], v[50:51], s[2:3], v[26:27]
	v_fma_f64 v[22:23], v[50:51], s[2:3], v[22:23]
	v_add_f64 v[50:51], v[60:61], v[56:57]
	v_add_f64 v[18:19], v[18:19], v[56:57]
	v_add_f64 v[56:57], v[86:87], -v[56:57]
	v_add_f64 v[60:61], v[76:77], -v[68:69]
	;; [unrolled: 1-line block ×3, first 2 shown]
	v_fma_f64 v[46:47], v[50:51], -0.5, v[46:47]
	v_add_f64 v[52:53], v[52:53], v[56:57]
	v_add_f64 v[84:85], v[60:61], v[84:85]
	v_fma_f64 v[50:51], v[58:59], s[12:13], v[46:47]
	v_fma_f64 v[46:47], v[58:59], s[14:15], v[46:47]
	v_add_f64 v[58:59], v[78:79], -v[74:75]
	v_fma_f64 v[50:51], v[54:55], s[16:17], v[50:51]
	v_fma_f64 v[46:47], v[54:55], s[4:5], v[46:47]
	v_add_f64 v[54:55], v[68:69], v[80:81]
	v_fma_f64 v[50:51], v[52:53], s[2:3], v[50:51]
	v_fma_f64 v[46:47], v[52:53], s[2:3], v[46:47]
	v_fma_f64 v[54:55], v[54:55], -0.5, v[64:65]
	v_add_f64 v[52:53], v[64:65], v[76:77]
	v_fma_f64 v[56:57], v[58:59], s[12:13], v[54:55]
	v_fma_f64 v[54:55], v[58:59], s[14:15], v[54:55]
	v_add_f64 v[52:53], v[52:53], v[68:69]
	v_fma_f64 v[56:57], v[62:63], s[4:5], v[56:57]
	v_fma_f64 v[54:55], v[62:63], s[16:17], v[54:55]
	;; [unrolled: 3-line block ×3, first 2 shown]
	v_add_f64 v[54:55], v[76:77], v[72:73]
	v_add_f64 v[52:53], v[52:53], v[72:73]
	v_add_f64 v[84:85], v[68:69], -v[76:77]
	v_add_f64 v[72:73], v[76:77], -v[72:73]
	;; [unrolled: 1-line block ×5, first 2 shown]
	v_fma_f64 v[54:55], v[54:55], -0.5, v[64:65]
	v_add_f64 v[86:87], v[84:85], v[86:87]
	v_add_f64 v[76:77], v[76:77], v[80:81]
	v_add_f64 v[80:81], v[40:41], -v[36:37]
	v_fma_f64 v[64:65], v[62:63], s[14:15], v[54:55]
	v_fma_f64 v[54:55], v[62:63], s[12:13], v[54:55]
	;; [unrolled: 1-line block ×4, first 2 shown]
	v_add_f64 v[58:59], v[70:71], v[82:83]
	v_fma_f64 v[84:85], v[86:87], s[2:3], v[64:65]
	v_fma_f64 v[64:65], v[86:87], s[2:3], v[54:55]
	v_fma_f64 v[58:59], v[58:59], -0.5, v[66:67]
	v_add_f64 v[54:55], v[66:67], v[78:79]
	v_fma_f64 v[62:63], v[72:73], s[14:15], v[58:59]
	v_fma_f64 v[58:59], v[72:73], s[12:13], v[58:59]
	v_add_f64 v[54:55], v[54:55], v[70:71]
	v_add_f64 v[70:71], v[70:71], -v[78:79]
	v_fma_f64 v[62:63], v[68:69], s[16:17], v[62:63]
	v_fma_f64 v[58:59], v[68:69], s[4:5], v[58:59]
	v_add_f64 v[54:55], v[54:55], v[82:83]
	v_fma_f64 v[62:63], v[76:77], s[2:3], v[62:63]
	v_fma_f64 v[58:59], v[76:77], s[2:3], v[58:59]
	v_add_f64 v[76:77], v[78:79], v[74:75]
	v_add_f64 v[54:55], v[54:55], v[74:75]
	v_add_f64 v[74:75], v[82:83], -v[74:75]
	v_add_f64 v[78:79], v[34:35], -v[38:39]
	;; [unrolled: 1-line block ×3, first 2 shown]
	v_fma_f64 v[66:67], v[76:77], -0.5, v[66:67]
	v_add_f64 v[70:71], v[70:71], v[74:75]
	v_add_f64 v[74:75], v[14:15], -v[42:43]
	v_fma_f64 v[76:77], v[68:69], s[12:13], v[66:67]
	v_fma_f64 v[66:67], v[68:69], s[14:15], v[66:67]
	v_add_f64 v[68:69], v[28:29], v[12:13]
	v_fma_f64 v[76:77], v[72:73], s[16:17], v[76:77]
	v_fma_f64 v[66:67], v[72:73], s[4:5], v[66:67]
	v_add_f64 v[68:69], v[68:69], v[32:33]
	;; [unrolled: 3-line block ×3, first 2 shown]
	v_add_f64 v[76:77], v[12:13], -v[32:33]
	v_add_f64 v[68:69], v[68:69], v[36:37]
	v_fma_f64 v[70:71], v[70:71], -0.5, v[28:29]
	v_add_f64 v[80:81], v[76:77], v[80:81]
	v_add_f64 v[68:69], v[68:69], v[40:41]
	v_fma_f64 v[72:73], v[74:75], s[12:13], v[70:71]
	v_fma_f64 v[70:71], v[74:75], s[14:15], v[70:71]
	;; [unrolled: 1-line block ×6, first 2 shown]
	v_add_f64 v[70:71], v[12:13], v[40:41]
	v_add_f64 v[80:81], v[32:33], -v[12:13]
	v_add_f64 v[12:13], v[12:13], -v[40:41]
	;; [unrolled: 1-line block ×3, first 2 shown]
	v_fma_f64 v[28:29], v[70:71], -0.5, v[28:29]
	v_add_f64 v[82:83], v[80:81], v[82:83]
	v_fma_f64 v[70:71], v[78:79], s[14:15], v[28:29]
	v_fma_f64 v[28:29], v[78:79], s[12:13], v[28:29]
	;; [unrolled: 1-line block ×4, first 2 shown]
	v_add_f64 v[74:75], v[42:43], -v[38:39]
	v_fma_f64 v[80:81], v[82:83], s[2:3], v[70:71]
	v_fma_f64 v[92:93], v[82:83], s[2:3], v[28:29]
	v_add_f64 v[28:29], v[30:31], v[14:15]
	v_add_f64 v[28:29], v[28:29], v[34:35]
	;; [unrolled: 1-line block ×5, first 2 shown]
	v_fma_f64 v[28:29], v[28:29], -0.5, v[30:31]
	v_fma_f64 v[40:41], v[12:13], s[14:15], v[28:29]
	v_fma_f64 v[28:29], v[12:13], s[12:13], v[28:29]
	;; [unrolled: 1-line block ×3, first 2 shown]
	v_add_f64 v[40:41], v[14:15], -v[34:35]
	v_fma_f64 v[28:29], v[32:33], s[4:5], v[28:29]
	v_add_f64 v[40:41], v[40:41], v[74:75]
	v_fma_f64 v[74:75], v[40:41], s[2:3], v[28:29]
	v_add_f64 v[28:29], v[14:15], v[42:43]
	v_add_f64 v[14:15], v[34:35], -v[14:15]
	v_add_f64 v[34:35], v[38:39], -v[42:43]
	v_fma_f64 v[78:79], v[40:41], s[2:3], v[36:37]
	v_add_f64 v[36:37], v[252:253], -v[4:5]
	v_add_f64 v[38:39], v[4:5], -v[252:253]
	;; [unrolled: 1-line block ×3, first 2 shown]
	v_fma_f64 v[28:29], v[28:29], -0.5, v[30:31]
	v_add_f64 v[14:15], v[14:15], v[34:35]
	v_add_f64 v[34:35], v[2:3], -v[6:7]
	v_fma_f64 v[30:31], v[32:33], s[12:13], v[28:29]
	v_fma_f64 v[28:29], v[32:33], s[14:15], v[28:29]
	v_add_f64 v[32:33], v[248:249], -v[0:1]
	v_fma_f64 v[30:31], v[12:13], s[16:17], v[30:31]
	v_fma_f64 v[12:13], v[12:13], s[4:5], v[28:29]
	v_add_f64 v[32:33], v[32:33], v[36:37]
	v_add_f64 v[36:37], v[0:1], -v[248:249]
	v_fma_f64 v[82:83], v[14:15], s[2:3], v[30:31]
	v_fma_f64 v[94:95], v[14:15], s[2:3], v[12:13]
	v_add_f64 v[14:15], v[0:1], v[4:5]
	v_add_f64 v[30:31], v[250:251], -v[254:255]
	v_add_f64 v[12:13], v[8:9], v[248:249]
	v_add_f64 v[38:39], v[36:37], v[38:39]
	ds_write_b128 v100, v[16:19]
	ds_write_b128 v100, v[24:27] offset:16
	ds_write_b128 v100, v[48:51] offset:32
	ds_write_b128 v100, v[44:47] offset:48
	ds_write_b128 v100, v[20:23] offset:64
	ds_write_b128 v101, v[52:55]
	ds_write_b128 v101, v[60:63] offset:16
	ds_write_b128 v101, v[84:87] offset:32
	ds_write_b128 v101, v[64:67] offset:48
	ds_write_b128 v101, v[56:59] offset:64
	;; [unrolled: 5-line block ×3, first 2 shown]
	v_fma_f64 v[14:15], v[14:15], -0.5, v[8:9]
	v_add_f64 v[12:13], v[12:13], v[0:1]
	v_add_f64 v[0:1], v[0:1], -v[4:5]
	v_fma_f64 v[28:29], v[30:31], s[12:13], v[14:15]
	v_fma_f64 v[14:15], v[30:31], s[14:15], v[14:15]
	v_add_f64 v[12:13], v[12:13], v[4:5]
	v_fma_f64 v[28:29], v[34:35], s[4:5], v[28:29]
	v_fma_f64 v[14:15], v[34:35], s[16:17], v[14:15]
	v_add_f64 v[12:13], v[12:13], v[252:253]
	;; [unrolled: 3-line block ×3, first 2 shown]
	v_fma_f64 v[8:9], v[14:15], -0.5, v[8:9]
	v_fma_f64 v[14:15], v[34:35], s[14:15], v[8:9]
	v_fma_f64 v[8:9], v[34:35], s[12:13], v[8:9]
	v_add_f64 v[34:35], v[254:255], -v[6:7]
	v_fma_f64 v[14:15], v[30:31], s[4:5], v[14:15]
	v_fma_f64 v[8:9], v[30:31], s[16:17], v[8:9]
	;; [unrolled: 1-line block ×4, first 2 shown]
	v_add_f64 v[8:9], v[10:11], v[250:251]
	v_add_f64 v[8:9], v[8:9], v[2:3]
	;; [unrolled: 1-line block ×5, first 2 shown]
	v_add_f64 v[6:7], v[6:7], -v[254:255]
	v_fma_f64 v[8:9], v[8:9], -0.5, v[10:11]
	v_fma_f64 v[30:31], v[42:43], s[14:15], v[8:9]
	v_fma_f64 v[4:5], v[0:1], s[16:17], v[30:31]
	v_add_f64 v[30:31], v[250:251], -v[2:3]
	v_add_f64 v[2:3], v[2:3], -v[250:251]
	v_add_f64 v[34:35], v[30:31], v[34:35]
	v_add_f64 v[2:3], v[2:3], v[6:7]
	v_fma_f64 v[30:31], v[34:35], s[2:3], v[4:5]
	v_fma_f64 v[4:5], v[42:43], s[12:13], v[8:9]
	;; [unrolled: 1-line block ×4, first 2 shown]
	v_add_f64 v[4:5], v[250:251], v[254:255]
	v_fma_f64 v[4:5], v[4:5], -0.5, v[10:11]
	v_fma_f64 v[8:9], v[0:1], s[12:13], v[4:5]
	v_fma_f64 v[0:1], v[0:1], s[14:15], v[4:5]
	;; [unrolled: 1-line block ×6, first 2 shown]
	s_and_saveexec_b64 s[2:3], s[0:1]
	s_cbranch_execz .LBB0_21
; %bb.20:
	v_lshlrev_b32_e32 v0, 4, v103
	ds_write_b128 v0, v[12:15]
	ds_write_b128 v0, v[28:31] offset:16
	ds_write_b128 v0, v[36:39] offset:32
	;; [unrolled: 1-line block ×4, first 2 shown]
.LBB0_21:
	s_or_b64 exec, exec, s[2:3]
	s_waitcnt lgkmcnt(0)
	s_barrier
	ds_read_b128 v[8:11], v96
	ds_read_b128 v[4:7], v96 offset:2000
	ds_read_b128 v[68:71], v96 offset:12800
	;; [unrolled: 1-line block ×14, first 2 shown]
	s_and_saveexec_b64 s[2:3], s[0:1]
	s_cbranch_execz .LBB0_23
; %bb.22:
	ds_read_b128 v[12:15], v96 offset:6000
	ds_read_b128 v[28:31], v96 offset:12400
	;; [unrolled: 1-line block ×5, first 2 shown]
.LBB0_23:
	s_or_b64 exec, exec, s[2:3]
	buffer_load_dword v82, off, s[24:27], 0 offset:288 ; 4-byte Folded Reload
	buffer_load_dword v83, off, s[24:27], 0 offset:292 ; 4-byte Folded Reload
	;; [unrolled: 1-line block ×4, first 2 shown]
	s_mov_b32 s14, s12
	s_mov_b32 s16, s4
	;; [unrolled: 1-line block ×4, first 2 shown]
	s_waitcnt vmcnt(0) lgkmcnt(8)
	v_mul_f64 v[80:81], v[84:85], v[78:79]
	v_fma_f64 v[250:251], v[82:83], v[76:77], v[80:81]
	v_mul_f64 v[76:77], v[84:85], v[76:77]
	v_fma_f64 v[252:253], v[82:83], v[78:79], -v[76:77]
	buffer_load_dword v78, off, s[24:27], 0 offset:272 ; 4-byte Folded Reload
	buffer_load_dword v79, off, s[24:27], 0 offset:276 ; 4-byte Folded Reload
	;; [unrolled: 1-line block ×4, first 2 shown]
	s_waitcnt vmcnt(0)
	v_mul_f64 v[76:77], v[80:81], v[70:71]
	v_fma_f64 v[254:255], v[78:79], v[68:69], v[76:77]
	v_mul_f64 v[68:69], v[80:81], v[68:69]
	v_fma_f64 v[98:99], v[78:79], v[70:71], -v[68:69]
	s_waitcnt lgkmcnt(4)
	v_mul_f64 v[68:69], v[106:107], v[74:75]
	v_fma_f64 v[102:103], v[104:105], v[72:73], v[68:69]
	v_mul_f64 v[68:69], v[106:107], v[72:73]
	buffer_load_dword v70, off, s[24:27], 0 offset:256 ; 4-byte Folded Reload
	buffer_load_dword v71, off, s[24:27], 0 offset:260 ; 4-byte Folded Reload
	;; [unrolled: 1-line block ×4, first 2 shown]
	v_fma_f64 v[106:107], v[104:105], v[74:75], -v[68:69]
	s_waitcnt vmcnt(0)
	v_mul_f64 v[68:69], v[72:73], v[66:67]
	v_fma_f64 v[108:109], v[70:71], v[64:65], v[68:69]
	v_mul_f64 v[64:65], v[72:73], v[64:65]
	v_fma_f64 v[110:111], v[70:71], v[66:67], -v[64:65]
	v_mul_f64 v[64:65], v[90:91], v[62:63]
	v_fma_f64 v[248:249], v[88:89], v[60:61], v[64:65]
	buffer_load_dword v64, off, s[24:27], 0 offset:336 ; 4-byte Folded Reload
	buffer_load_dword v65, off, s[24:27], 0 offset:340 ; 4-byte Folded Reload
	;; [unrolled: 1-line block ×4, first 2 shown]
	v_mul_f64 v[60:61], v[90:91], v[60:61]
	v_fma_f64 v[60:61], v[88:89], v[62:63], -v[60:61]
	s_waitcnt vmcnt(0)
	v_mul_f64 v[62:63], v[66:67], v[54:55]
	v_fma_f64 v[104:105], v[64:65], v[52:53], v[62:63]
	v_mul_f64 v[52:53], v[66:67], v[52:53]
	v_fma_f64 v[52:53], v[64:65], v[54:55], -v[52:53]
	buffer_load_dword v62, off, s[24:27], 0 offset:320 ; 4-byte Folded Reload
	buffer_load_dword v63, off, s[24:27], 0 offset:324 ; 4-byte Folded Reload
	;; [unrolled: 1-line block ×4, first 2 shown]
	s_waitcnt vmcnt(0) lgkmcnt(2)
	v_mul_f64 v[54:55], v[64:65], v[58:59]
	v_fma_f64 v[100:101], v[62:63], v[56:57], v[54:55]
	v_mul_f64 v[54:55], v[64:65], v[56:57]
	v_fma_f64 v[54:55], v[62:63], v[58:59], -v[54:55]
	buffer_load_dword v62, off, s[24:27], 0 offset:304 ; 4-byte Folded Reload
	buffer_load_dword v63, off, s[24:27], 0 offset:308 ; 4-byte Folded Reload
	;; [unrolled: 1-line block ×4, first 2 shown]
	s_waitcnt vmcnt(0)
	v_mul_f64 v[56:57], v[64:65], v[50:51]
	v_fma_f64 v[56:57], v[62:63], v[48:49], v[56:57]
	v_mul_f64 v[48:49], v[64:65], v[48:49]
	v_fma_f64 v[50:51], v[62:63], v[50:51], -v[48:49]
	v_mul_f64 v[48:49], v[122:123], v[46:47]
	v_fma_f64 v[58:59], v[120:121], v[44:45], v[48:49]
	v_mul_f64 v[44:45], v[122:123], v[44:45]
	v_fma_f64 v[76:77], v[120:121], v[46:47], -v[44:45]
	v_mul_f64 v[44:45], v[118:119], v[26:27]
	v_add_f64 v[46:47], v[104:105], -v[100:101]
	v_fma_f64 v[62:63], v[116:117], v[24:25], v[44:45]
	v_mul_f64 v[24:25], v[118:119], v[24:25]
	v_fma_f64 v[86:87], v[116:117], v[26:27], -v[24:25]
	s_waitcnt lgkmcnt(1)
	v_mul_f64 v[24:25], v[114:115], v[22:23]
	v_add_f64 v[26:27], v[108:109], -v[102:103]
	v_fma_f64 v[92:93], v[112:113], v[20:21], v[24:25]
	v_mul_f64 v[20:21], v[114:115], v[20:21]
	v_fma_f64 v[88:89], v[112:113], v[22:23], -v[20:21]
	buffer_load_dword v22, off, s[24:27], 0 offset:352 ; 4-byte Folded Reload
	buffer_load_dword v23, off, s[24:27], 0 offset:356 ; 4-byte Folded Reload
	;; [unrolled: 1-line block ×4, first 2 shown]
	s_waitcnt vmcnt(0) lgkmcnt(0)
	s_barrier
	v_mul_f64 v[20:21], v[24:25], v[18:19]
	v_fma_f64 v[94:95], v[22:23], v[16:17], v[20:21]
	v_mul_f64 v[16:17], v[24:25], v[16:17]
	v_add_f64 v[24:25], v[250:251], -v[254:255]
	v_fma_f64 v[90:91], v[22:23], v[18:19], -v[16:17]
	v_mul_f64 v[16:17], v[138:139], v[30:31]
	v_add_f64 v[18:19], v[252:253], -v[110:111]
	v_add_f64 v[22:23], v[98:99], -v[106:107]
	v_add_f64 v[24:25], v[24:25], v[26:27]
	v_add_f64 v[26:27], v[254:255], -v[250:251]
	v_fma_f64 v[72:73], v[136:137], v[28:29], v[16:17]
	v_mul_f64 v[16:17], v[138:139], v[28:29]
	v_add_f64 v[28:29], v[102:103], -v[108:109]
	v_fma_f64 v[64:65], v[136:137], v[30:31], -v[16:17]
	v_mul_f64 v[16:17], v[134:135], v[38:39]
	v_add_f64 v[26:27], v[26:27], v[28:29]
	v_add_f64 v[30:31], v[110:111], -v[106:107]
	v_fma_f64 v[74:75], v[132:133], v[36:37], v[16:17]
	v_mul_f64 v[16:17], v[134:135], v[36:37]
	v_add_f64 v[36:37], v[248:249], -v[104:105]
	v_fma_f64 v[66:67], v[132:133], v[38:39], -v[16:17]
	v_mul_f64 v[16:17], v[130:131], v[42:43]
	v_add_f64 v[38:39], v[52:53], -v[54:55]
	v_fma_f64 v[78:79], v[128:129], v[40:41], v[16:17]
	v_mul_f64 v[16:17], v[130:131], v[40:41]
	v_add_f64 v[40:41], v[56:57], -v[100:101]
	v_fma_f64 v[68:69], v[128:129], v[42:43], -v[16:17]
	v_mul_f64 v[16:17], v[126:127], v[34:35]
	v_add_f64 v[36:37], v[36:37], v[40:41]
	v_add_f64 v[42:43], v[100:101], -v[56:57]
	v_fma_f64 v[84:85], v[124:125], v[32:33], v[16:17]
	v_mul_f64 v[16:17], v[126:127], v[32:33]
	v_add_f64 v[32:33], v[254:255], -v[102:103]
	v_fma_f64 v[70:71], v[124:125], v[34:35], -v[16:17]
	v_add_f64 v[16:17], v[8:9], v[250:251]
	v_add_f64 v[34:35], v[106:107], -v[110:111]
	v_add_f64 v[16:17], v[16:17], v[254:255]
	v_add_f64 v[16:17], v[16:17], v[102:103]
	;; [unrolled: 1-line block ×4, first 2 shown]
	v_fma_f64 v[16:17], v[16:17], -0.5, v[8:9]
	v_fma_f64 v[20:21], v[18:19], s[12:13], v[16:17]
	v_fma_f64 v[16:17], v[18:19], s[14:15], v[16:17]
	;; [unrolled: 1-line block ×6, first 2 shown]
	v_add_f64 v[24:25], v[250:251], v[108:109]
	v_fma_f64 v[8:9], v[24:25], -0.5, v[8:9]
	v_fma_f64 v[24:25], v[22:23], s[14:15], v[8:9]
	v_fma_f64 v[8:9], v[22:23], s[12:13], v[8:9]
	v_add_f64 v[22:23], v[252:253], -v[98:99]
	v_fma_f64 v[24:25], v[18:19], s[4:5], v[24:25]
	v_fma_f64 v[8:9], v[18:19], s[16:17], v[8:9]
	v_add_f64 v[30:31], v[22:23], v[30:31]
	v_fma_f64 v[28:29], v[26:27], s[2:3], v[24:25]
	v_fma_f64 v[24:25], v[26:27], s[2:3], v[8:9]
	v_add_f64 v[8:9], v[10:11], v[252:253]
	v_add_f64 v[26:27], v[250:251], -v[108:109]
	v_add_f64 v[8:9], v[8:9], v[98:99]
	v_add_f64 v[8:9], v[8:9], v[106:107]
	;; [unrolled: 1-line block ×4, first 2 shown]
	v_fma_f64 v[8:9], v[8:9], -0.5, v[10:11]
	v_fma_f64 v[18:19], v[26:27], s[14:15], v[8:9]
	v_fma_f64 v[8:9], v[26:27], s[12:13], v[8:9]
	;; [unrolled: 1-line block ×6, first 2 shown]
	v_add_f64 v[8:9], v[252:253], v[110:111]
	v_add_f64 v[30:31], v[98:99], -v[252:253]
	v_fma_f64 v[8:9], v[8:9], -0.5, v[10:11]
	v_add_f64 v[34:35], v[30:31], v[34:35]
	v_fma_f64 v[10:11], v[32:33], s[12:13], v[8:9]
	v_fma_f64 v[8:9], v[32:33], s[14:15], v[8:9]
	;; [unrolled: 1-line block ×6, first 2 shown]
	v_add_f64 v[8:9], v[4:5], v[248:249]
	v_add_f64 v[10:11], v[60:61], -v[50:51]
	v_add_f64 v[8:9], v[8:9], v[104:105]
	v_add_f64 v[8:9], v[8:9], v[100:101]
	;; [unrolled: 1-line block ×4, first 2 shown]
	v_fma_f64 v[8:9], v[8:9], -0.5, v[4:5]
	v_fma_f64 v[34:35], v[10:11], s[12:13], v[8:9]
	v_fma_f64 v[8:9], v[10:11], s[14:15], v[8:9]
	;; [unrolled: 1-line block ×6, first 2 shown]
	v_add_f64 v[8:9], v[248:249], v[56:57]
	v_add_f64 v[34:35], v[104:105], -v[248:249]
	v_fma_f64 v[4:5], v[8:9], -0.5, v[4:5]
	v_add_f64 v[34:35], v[34:35], v[42:43]
	v_add_f64 v[42:43], v[50:51], -v[54:55]
	v_fma_f64 v[8:9], v[38:39], s[14:15], v[4:5]
	v_fma_f64 v[4:5], v[38:39], s[12:13], v[4:5]
	v_add_f64 v[38:39], v[60:61], -v[52:53]
	v_fma_f64 v[8:9], v[10:11], s[4:5], v[8:9]
	v_fma_f64 v[4:5], v[10:11], s[16:17], v[4:5]
	v_add_f64 v[38:39], v[38:39], v[42:43]
	v_fma_f64 v[48:49], v[34:35], s[2:3], v[8:9]
	v_fma_f64 v[44:45], v[34:35], s[2:3], v[4:5]
	v_add_f64 v[4:5], v[6:7], v[60:61]
	v_add_f64 v[8:9], v[248:249], -v[56:57]
	v_add_f64 v[56:57], v[94:95], -v[92:93]
	v_add_f64 v[4:5], v[4:5], v[52:53]
	v_add_f64 v[4:5], v[4:5], v[54:55]
	;; [unrolled: 1-line block ×4, first 2 shown]
	v_fma_f64 v[4:5], v[4:5], -0.5, v[6:7]
	v_fma_f64 v[10:11], v[8:9], s[14:15], v[4:5]
	v_fma_f64 v[4:5], v[8:9], s[12:13], v[4:5]
	;; [unrolled: 1-line block ×6, first 2 shown]
	v_add_f64 v[4:5], v[60:61], v[50:51]
	v_add_f64 v[10:11], v[52:53], -v[60:61]
	v_add_f64 v[50:51], v[54:55], -v[50:51]
	;; [unrolled: 1-line block ×3, first 2 shown]
	v_fma_f64 v[4:5], v[4:5], -0.5, v[6:7]
	v_add_f64 v[10:11], v[10:11], v[50:51]
	v_add_f64 v[54:55], v[54:55], v[56:57]
	v_fma_f64 v[6:7], v[46:47], s[12:13], v[4:5]
	v_fma_f64 v[4:5], v[46:47], s[14:15], v[4:5]
	;; [unrolled: 1-line block ×6, first 2 shown]
	v_add_f64 v[4:5], v[0:1], v[58:59]
	v_add_f64 v[6:7], v[76:77], -v[90:91]
	v_add_f64 v[10:11], v[86:87], -v[88:89]
	v_add_f64 v[4:5], v[4:5], v[62:63]
	v_add_f64 v[4:5], v[4:5], v[92:93]
	;; [unrolled: 1-line block ×4, first 2 shown]
	v_fma_f64 v[4:5], v[4:5], -0.5, v[0:1]
	v_fma_f64 v[8:9], v[6:7], s[12:13], v[4:5]
	v_fma_f64 v[4:5], v[6:7], s[14:15], v[4:5]
	;; [unrolled: 1-line block ×6, first 2 shown]
	v_add_f64 v[4:5], v[58:59], v[94:95]
	v_add_f64 v[8:9], v[62:63], -v[58:59]
	v_add_f64 v[54:55], v[92:93], -v[94:95]
	v_fma_f64 v[0:1], v[4:5], -0.5, v[0:1]
	v_add_f64 v[8:9], v[8:9], v[54:55]
	v_fma_f64 v[4:5], v[10:11], s[14:15], v[0:1]
	v_fma_f64 v[0:1], v[10:11], s[12:13], v[0:1]
	v_add_f64 v[10:11], v[76:77], -v[86:87]
	v_fma_f64 v[4:5], v[6:7], s[4:5], v[4:5]
	v_fma_f64 v[0:1], v[6:7], s[16:17], v[0:1]
	;; [unrolled: 1-line block ×4, first 2 shown]
	v_add_f64 v[0:1], v[2:3], v[76:77]
	v_add_f64 v[4:5], v[58:59], -v[94:95]
	v_add_f64 v[8:9], v[62:63], -v[92:93]
	;; [unrolled: 1-line block ×3, first 2 shown]
	v_add_f64 v[0:1], v[0:1], v[86:87]
	v_add_f64 v[10:11], v[10:11], v[58:59]
	;; [unrolled: 1-line block ×5, first 2 shown]
	v_fma_f64 v[0:1], v[0:1], -0.5, v[2:3]
	v_fma_f64 v[6:7], v[4:5], s[14:15], v[0:1]
	v_fma_f64 v[0:1], v[4:5], s[12:13], v[0:1]
	;; [unrolled: 1-line block ×6, first 2 shown]
	v_add_f64 v[0:1], v[76:77], v[90:91]
	v_add_f64 v[6:7], v[86:87], -v[76:77]
	v_add_f64 v[10:11], v[88:89], -v[90:91]
	;; [unrolled: 1-line block ×4, first 2 shown]
	v_fma_f64 v[0:1], v[0:1], -0.5, v[2:3]
	v_add_f64 v[6:7], v[6:7], v[10:11]
	v_add_f64 v[10:11], v[66:67], -v[68:69]
	v_fma_f64 v[2:3], v[8:9], s[12:13], v[0:1]
	v_fma_f64 v[0:1], v[8:9], s[14:15], v[0:1]
	v_add_f64 v[8:9], v[72:73], -v[74:75]
	v_fma_f64 v[2:3], v[4:5], s[16:17], v[2:3]
	v_fma_f64 v[0:1], v[4:5], s[4:5], v[0:1]
	v_add_f64 v[8:9], v[8:9], v[76:77]
	v_add_f64 v[76:77], v[74:75], -v[72:73]
	v_fma_f64 v[102:103], v[6:7], s[2:3], v[2:3]
	v_add_f64 v[2:3], v[74:75], v[78:79]
	v_fma_f64 v[106:107], v[6:7], s[2:3], v[0:1]
	v_add_f64 v[6:7], v[64:65], -v[70:71]
	v_add_f64 v[0:1], v[12:13], v[72:73]
	v_add_f64 v[76:77], v[76:77], v[86:87]
	v_fma_f64 v[2:3], v[2:3], -0.5, v[12:13]
	v_add_f64 v[0:1], v[0:1], v[74:75]
	v_add_f64 v[74:75], v[74:75], -v[78:79]
	v_fma_f64 v[4:5], v[6:7], s[12:13], v[2:3]
	v_fma_f64 v[2:3], v[6:7], s[14:15], v[2:3]
	v_add_f64 v[0:1], v[0:1], v[78:79]
	v_add_f64 v[78:79], v[64:65], -v[66:67]
	v_fma_f64 v[4:5], v[10:11], s[4:5], v[4:5]
	v_fma_f64 v[2:3], v[10:11], s[16:17], v[2:3]
	v_add_f64 v[0:1], v[0:1], v[84:85]
	v_fma_f64 v[4:5], v[8:9], s[2:3], v[4:5]
	v_fma_f64 v[8:9], v[8:9], s[2:3], v[2:3]
	v_add_f64 v[2:3], v[72:73], v[84:85]
	v_add_f64 v[72:73], v[72:73], -v[84:85]
	v_add_f64 v[84:85], v[70:71], -v[68:69]
	v_fma_f64 v[2:3], v[2:3], -0.5, v[12:13]
	v_add_f64 v[78:79], v[78:79], v[84:85]
	v_fma_f64 v[12:13], v[10:11], s[14:15], v[2:3]
	v_fma_f64 v[2:3], v[10:11], s[12:13], v[2:3]
	;; [unrolled: 1-line block ×4, first 2 shown]
	v_add_f64 v[6:7], v[66:67], v[68:69]
	v_fma_f64 v[12:13], v[76:77], s[2:3], v[12:13]
	v_fma_f64 v[76:77], v[76:77], s[2:3], v[2:3]
	v_fma_f64 v[10:11], v[6:7], -0.5, v[14:15]
	v_add_f64 v[2:3], v[14:15], v[64:65]
	v_fma_f64 v[6:7], v[72:73], s[14:15], v[10:11]
	v_fma_f64 v[10:11], v[72:73], s[12:13], v[10:11]
	v_add_f64 v[2:3], v[2:3], v[66:67]
	v_fma_f64 v[6:7], v[74:75], s[16:17], v[6:7]
	v_fma_f64 v[10:11], v[74:75], s[4:5], v[10:11]
	;; [unrolled: 3-line block ×3, first 2 shown]
	v_add_f64 v[78:79], v[64:65], v[70:71]
	v_add_f64 v[64:65], v[66:67], -v[64:65]
	v_add_f64 v[66:67], v[68:69], -v[70:71]
	v_add_f64 v[2:3], v[2:3], v[70:71]
	v_fma_f64 v[78:79], v[78:79], -0.5, v[14:15]
	v_add_f64 v[64:65], v[64:65], v[66:67]
	v_fma_f64 v[14:15], v[74:75], s[12:13], v[78:79]
	v_fma_f64 v[66:67], v[74:75], s[14:15], v[78:79]
	;; [unrolled: 1-line block ×6, first 2 shown]
	buffer_load_dword v64, off, s[24:27], 0 offset:368 ; 4-byte Folded Reload
	s_waitcnt vmcnt(0)
	ds_write_b128 v64, v[80:83]
	ds_write_b128 v64, v[20:23] offset:80
	ds_write_b128 v64, v[28:31] offset:160
	ds_write_b128 v64, v[24:27] offset:240
	ds_write_b128 v64, v[16:19] offset:320
	buffer_load_dword v16, off, s[24:27], 0 offset:372 ; 4-byte Folded Reload
	s_waitcnt vmcnt(0)
	ds_write_b128 v16, v[32:35]
	ds_write_b128 v16, v[40:43] offset:80
	ds_write_b128 v16, v[48:51] offset:160
	ds_write_b128 v16, v[44:47] offset:240
	ds_write_b128 v16, v[36:39] offset:320
	;; [unrolled: 7-line block ×3, first 2 shown]
	s_and_saveexec_b64 s[2:3], s[0:1]
	s_cbranch_execz .LBB0_25
; %bb.24:
	buffer_load_dword v16, off, s[24:27], 0 offset:380 ; 4-byte Folded Reload
	s_waitcnt vmcnt(0)
	v_lshlrev_b32_e32 v16, 4, v16
	ds_write_b128 v16, v[0:3]
	ds_write_b128 v16, v[4:7] offset:80
	ds_write_b128 v16, v[12:15] offset:160
	;; [unrolled: 1-line block ×4, first 2 shown]
.LBB0_25:
	s_or_b64 exec, exec, s[2:3]
	s_waitcnt lgkmcnt(0)
	s_barrier
	ds_read_b128 v[32:35], v96
	ds_read_b128 v[16:19], v96 offset:2000
	ds_read_b128 v[60:63], v96 offset:12800
	ds_read_b128 v[44:47], v96 offset:14800
	ds_read_b128 v[56:59], v96 offset:25600
	ds_read_b128 v[40:43], v96 offset:27600
	ds_read_b128 v[68:71], v96 offset:6400
	ds_read_b128 v[80:83], v96 offset:4000
	ds_read_b128 v[52:55], v96 offset:8400
	ds_read_b128 v[36:39], v96 offset:10400
	ds_read_b128 v[64:67], v96 offset:19200
	ds_read_b128 v[28:31], v96 offset:16800
	ds_read_b128 v[48:51], v96 offset:21200
	ds_read_b128 v[24:27], v96 offset:23200
	ds_read_b128 v[20:23], v96 offset:29600
	s_and_saveexec_b64 s[2:3], s[0:1]
	s_cbranch_execz .LBB0_27
; %bb.26:
	ds_read_b128 v[0:3], v96 offset:6000
	ds_read_b128 v[4:7], v96 offset:12400
	;; [unrolled: 1-line block ×5, first 2 shown]
.LBB0_27:
	s_or_b64 exec, exec, s[2:3]
	s_waitcnt lgkmcnt(8)
	v_mul_f64 v[72:73], v[154:155], v[70:71]
	s_mov_b32 s4, 0x134454ff
	s_mov_b32 s5, 0xbfee6f0e
	;; [unrolled: 1-line block ×7, first 2 shown]
	v_fma_f64 v[88:89], v[152:153], v[68:69], v[72:73]
	v_mul_f64 v[68:69], v[154:155], v[68:69]
	s_mov_b32 s14, s12
	s_mov_b32 s2, 0x372fe950
	;; [unrolled: 1-line block ×3, first 2 shown]
	s_waitcnt lgkmcnt(0)
	s_barrier
	v_fma_f64 v[90:91], v[152:153], v[70:71], -v[68:69]
	v_mul_f64 v[68:69], v[150:151], v[62:63]
	v_fma_f64 v[92:93], v[148:149], v[60:61], v[68:69]
	v_mul_f64 v[60:61], v[150:151], v[60:61]
	v_fma_f64 v[94:95], v[148:149], v[62:63], -v[60:61]
	v_mul_f64 v[60:61], v[146:147], v[66:67]
	v_fma_f64 v[98:99], v[144:145], v[64:65], v[60:61]
	v_mul_f64 v[60:61], v[146:147], v[64:65]
	;; [unrolled: 4-line block ×6, first 2 shown]
	v_add_f64 v[48:49], v[100:101], -v[104:105]
	v_fma_f64 v[72:73], v[160:161], v[50:51], -v[44:45]
	v_mul_f64 v[44:45], v[158:159], v[42:43]
	v_fma_f64 v[50:51], v[156:157], v[40:41], v[44:45]
	v_mul_f64 v[40:41], v[158:159], v[40:41]
	v_add_f64 v[44:45], v[104:105], -v[100:101]
	v_fma_f64 v[74:75], v[156:157], v[42:43], -v[40:41]
	v_mul_f64 v[40:41], v[186:187], v[38:39]
	v_add_f64 v[42:43], v[92:93], -v[98:99]
	v_fma_f64 v[60:61], v[184:185], v[36:37], v[40:41]
	v_mul_f64 v[36:37], v[186:187], v[36:37]
	v_add_f64 v[40:41], v[88:89], -v[102:103]
	v_fma_f64 v[52:53], v[184:185], v[38:39], -v[36:37]
	v_mul_f64 v[36:37], v[182:183], v[30:31]
	v_add_f64 v[38:39], v[98:99], -v[102:103]
	;; [unrolled: 6-line block ×4, first 2 shown]
	v_add_f64 v[36:37], v[28:29], v[36:37]
	v_fma_f64 v[66:67], v[172:173], v[20:21], v[24:25]
	v_mul_f64 v[20:21], v[174:175], v[20:21]
	v_fma_f64 v[58:59], v[172:173], v[22:23], -v[20:21]
	v_add_f64 v[22:23], v[92:93], v[98:99]
	v_add_f64 v[20:21], v[32:33], v[88:89]
	v_fma_f64 v[22:23], v[22:23], -0.5, v[32:33]
	v_add_f64 v[20:21], v[20:21], v[92:93]
	v_fma_f64 v[24:25], v[26:27], s[4:5], v[22:23]
	v_fma_f64 v[22:23], v[26:27], s[16:17], v[22:23]
	v_add_f64 v[20:21], v[20:21], v[98:99]
	v_fma_f64 v[24:25], v[30:31], s[12:13], v[24:25]
	v_fma_f64 v[22:23], v[30:31], s[14:15], v[22:23]
	;; [unrolled: 3-line block ×3, first 2 shown]
	v_add_f64 v[22:23], v[88:89], v[102:103]
	v_add_f64 v[36:37], v[92:93], -v[88:89]
	v_add_f64 v[88:89], v[68:69], -v[74:75]
	;; [unrolled: 1-line block ×3, first 2 shown]
	v_fma_f64 v[22:23], v[22:23], -0.5, v[32:33]
	v_add_f64 v[38:39], v[36:37], v[38:39]
	v_fma_f64 v[32:33], v[30:31], s[16:17], v[22:23]
	v_fma_f64 v[22:23], v[30:31], s[4:5], v[22:23]
	;; [unrolled: 1-line block ×4, first 2 shown]
	v_add_f64 v[26:27], v[94:95], v[100:101]
	v_fma_f64 v[36:37], v[38:39], s[2:3], v[32:33]
	v_fma_f64 v[32:33], v[38:39], s[2:3], v[22:23]
	v_fma_f64 v[26:27], v[26:27], -0.5, v[34:35]
	v_add_f64 v[38:39], v[90:91], -v[94:95]
	v_add_f64 v[22:23], v[34:35], v[90:91]
	v_fma_f64 v[30:31], v[40:41], s[16:17], v[26:27]
	v_fma_f64 v[26:27], v[40:41], s[4:5], v[26:27]
	v_add_f64 v[38:39], v[38:39], v[44:45]
	v_add_f64 v[44:45], v[94:95], -v[90:91]
	v_add_f64 v[22:23], v[22:23], v[94:95]
	v_add_f64 v[94:95], v[46:47], -v[50:51]
	v_fma_f64 v[30:31], v[42:43], s[14:15], v[30:31]
	v_fma_f64 v[26:27], v[42:43], s[12:13], v[26:27]
	v_add_f64 v[44:45], v[44:45], v[48:49]
	v_add_f64 v[48:49], v[84:85], -v[86:87]
	v_add_f64 v[22:23], v[22:23], v[100:101]
	v_fma_f64 v[30:31], v[38:39], s[2:3], v[30:31]
	v_fma_f64 v[26:27], v[38:39], s[2:3], v[26:27]
	v_add_f64 v[38:39], v[90:91], v[104:105]
	v_add_f64 v[90:91], v[70:71], -v[72:73]
	v_add_f64 v[92:93], v[48:49], v[92:93]
	v_add_f64 v[22:23], v[22:23], v[104:105]
	v_fma_f64 v[34:35], v[38:39], -0.5, v[34:35]
	v_fma_f64 v[38:39], v[42:43], s[4:5], v[34:35]
	v_fma_f64 v[34:35], v[42:43], s[16:17], v[34:35]
	v_add_f64 v[42:43], v[86:87], v[46:47]
	v_fma_f64 v[38:39], v[40:41], s[14:15], v[38:39]
	v_fma_f64 v[34:35], v[40:41], s[12:13], v[34:35]
	v_fma_f64 v[42:43], v[42:43], -0.5, v[16:17]
	v_add_f64 v[40:41], v[16:17], v[84:85]
	v_fma_f64 v[38:39], v[44:45], s[2:3], v[38:39]
	v_fma_f64 v[34:35], v[44:45], s[2:3], v[34:35]
	;; [unrolled: 1-line block ×4, first 2 shown]
	v_add_f64 v[40:41], v[40:41], v[86:87]
	v_fma_f64 v[44:45], v[90:91], s[12:13], v[44:45]
	v_fma_f64 v[42:43], v[90:91], s[14:15], v[42:43]
	v_add_f64 v[40:41], v[40:41], v[46:47]
	v_fma_f64 v[48:49], v[92:93], s[2:3], v[44:45]
	v_fma_f64 v[44:45], v[92:93], s[2:3], v[42:43]
	v_add_f64 v[42:43], v[84:85], v[50:51]
	v_add_f64 v[92:93], v[86:87], -v[84:85]
	v_add_f64 v[84:85], v[84:85], -v[50:51]
	v_add_f64 v[40:41], v[40:41], v[50:51]
	v_add_f64 v[86:87], v[86:87], -v[46:47]
	v_fma_f64 v[42:43], v[42:43], -0.5, v[16:17]
	v_add_f64 v[92:93], v[92:93], v[94:95]
	v_add_f64 v[94:95], v[64:65], -v[66:67]
	v_fma_f64 v[16:17], v[90:91], s[16:17], v[42:43]
	v_fma_f64 v[42:43], v[90:91], s[4:5], v[42:43]
	v_add_f64 v[90:91], v[70:71], v[72:73]
	v_fma_f64 v[16:17], v[88:89], s[12:13], v[16:17]
	v_fma_f64 v[42:43], v[88:89], s[14:15], v[42:43]
	v_fma_f64 v[90:91], v[90:91], -0.5, v[18:19]
	v_fma_f64 v[16:17], v[92:93], s[2:3], v[16:17]
	v_fma_f64 v[88:89], v[92:93], s[2:3], v[42:43]
	v_fma_f64 v[50:51], v[84:85], s[16:17], v[90:91]
	v_add_f64 v[92:93], v[74:75], -v[72:73]
	v_add_f64 v[42:43], v[18:19], v[68:69]
	v_fma_f64 v[46:47], v[86:87], s[14:15], v[50:51]
	v_add_f64 v[50:51], v[68:69], -v[70:71]
	v_add_f64 v[42:43], v[42:43], v[70:71]
	v_add_f64 v[92:93], v[50:51], v[92:93]
	;; [unrolled: 1-line block ×3, first 2 shown]
	v_fma_f64 v[50:51], v[92:93], s[2:3], v[46:47]
	v_fma_f64 v[46:47], v[84:85], s[4:5], v[90:91]
	v_add_f64 v[90:91], v[68:69], v[74:75]
	v_add_f64 v[68:69], v[70:71], -v[68:69]
	v_add_f64 v[70:71], v[72:73], -v[74:75]
	v_add_f64 v[42:43], v[42:43], v[74:75]
	v_add_f64 v[74:75], v[52:53], -v[58:59]
	v_fma_f64 v[46:47], v[86:87], s[12:13], v[46:47]
	v_fma_f64 v[90:91], v[90:91], -0.5, v[18:19]
	v_add_f64 v[68:69], v[68:69], v[70:71]
	v_fma_f64 v[46:47], v[92:93], s[2:3], v[46:47]
	v_fma_f64 v[70:71], v[86:87], s[16:17], v[90:91]
	;; [unrolled: 1-line block ×3, first 2 shown]
	v_add_f64 v[86:87], v[54:55], -v[56:57]
	v_add_f64 v[92:93], v[66:67], -v[64:65]
	v_fma_f64 v[70:71], v[84:85], s[12:13], v[70:71]
	v_fma_f64 v[18:19], v[84:85], s[14:15], v[18:19]
	v_add_f64 v[84:85], v[60:61], -v[62:63]
	v_fma_f64 v[90:91], v[68:69], s[2:3], v[70:71]
	v_add_f64 v[70:71], v[62:63], v[64:65]
	v_add_f64 v[84:85], v[84:85], v[92:93]
	v_fma_f64 v[18:19], v[68:69], s[2:3], v[18:19]
	v_add_f64 v[68:69], v[80:81], v[60:61]
	v_add_f64 v[92:93], v[62:63], -v[60:61]
	v_fma_f64 v[70:71], v[70:71], -0.5, v[80:81]
	v_add_f64 v[68:69], v[68:69], v[62:63]
	v_add_f64 v[62:63], v[62:63], -v[64:65]
	v_add_f64 v[92:93], v[92:93], v[94:95]
	v_fma_f64 v[72:73], v[74:75], s[4:5], v[70:71]
	v_fma_f64 v[70:71], v[74:75], s[16:17], v[70:71]
	v_add_f64 v[68:69], v[68:69], v[64:65]
	v_fma_f64 v[72:73], v[86:87], s[12:13], v[72:73]
	v_fma_f64 v[70:71], v[86:87], s[14:15], v[70:71]
	;; [unrolled: 3-line block ×3, first 2 shown]
	v_add_f64 v[70:71], v[60:61], v[66:67]
	v_add_f64 v[60:61], v[60:61], -v[66:67]
	v_fma_f64 v[70:71], v[70:71], -0.5, v[80:81]
	v_fma_f64 v[80:81], v[86:87], s[16:17], v[70:71]
	v_fma_f64 v[70:71], v[86:87], s[4:5], v[70:71]
	;; [unrolled: 1-line block ×4, first 2 shown]
	v_add_f64 v[74:75], v[54:55], v[56:57]
	v_fma_f64 v[80:81], v[92:93], s[2:3], v[80:81]
	v_fma_f64 v[92:93], v[92:93], s[2:3], v[70:71]
	v_fma_f64 v[86:87], v[74:75], -0.5, v[82:83]
	v_add_f64 v[74:75], v[58:59], -v[56:57]
	v_add_f64 v[70:71], v[82:83], v[52:53]
	v_fma_f64 v[66:67], v[60:61], s[16:17], v[86:87]
	v_add_f64 v[70:71], v[70:71], v[54:55]
	v_fma_f64 v[64:65], v[62:63], s[14:15], v[66:67]
	v_add_f64 v[66:67], v[52:53], -v[54:55]
	v_add_f64 v[70:71], v[70:71], v[56:57]
	v_add_f64 v[66:67], v[66:67], v[74:75]
	;; [unrolled: 1-line block ×3, first 2 shown]
	v_fma_f64 v[74:75], v[66:67], s[2:3], v[64:65]
	v_fma_f64 v[64:65], v[60:61], s[4:5], v[86:87]
	;; [unrolled: 1-line block ×4, first 2 shown]
	v_add_f64 v[64:65], v[52:53], v[58:59]
	v_add_f64 v[52:53], v[54:55], -v[52:53]
	v_add_f64 v[54:55], v[56:57], -v[58:59]
	v_fma_f64 v[64:65], v[64:65], -0.5, v[82:83]
	v_add_f64 v[52:53], v[52:53], v[54:55]
	v_fma_f64 v[66:67], v[62:63], s[4:5], v[64:65]
	v_fma_f64 v[54:55], v[62:63], s[16:17], v[64:65]
	;; [unrolled: 1-line block ×6, first 2 shown]
	buffer_load_dword v52, off, s[24:27], 0 offset:388 ; 4-byte Folded Reload
	s_waitcnt vmcnt(0)
	ds_write_b128 v52, v[20:23]
	ds_write_b128 v52, v[28:31] offset:400
	ds_write_b128 v52, v[36:39] offset:800
	ds_write_b128 v52, v[32:35] offset:1200
	ds_write_b128 v52, v[24:27] offset:1600
	buffer_load_dword v20, off, s[24:27], 0 offset:392 ; 4-byte Folded Reload
	s_waitcnt vmcnt(0)
	ds_write_b128 v20, v[40:43]
	ds_write_b128 v20, v[48:51] offset:400
	ds_write_b128 v20, v[16:19] offset:800
	ds_write_b128 v20, v[88:91] offset:1200
	ds_write_b128 v20, v[44:47] offset:1600
	;; [unrolled: 7-line block ×3, first 2 shown]
	s_and_saveexec_b64 s[18:19], s[0:1]
	s_cbranch_execz .LBB0_29
; %bb.28:
	buffer_load_dword v40, off, s[24:27], 0 offset:432 ; 4-byte Folded Reload
	buffer_load_dword v41, off, s[24:27], 0 offset:436 ; 4-byte Folded Reload
	;; [unrolled: 1-line block ×16, first 2 shown]
	s_waitcnt vmcnt(12)
	v_mul_f64 v[16:17], v[42:43], v[12:13]
	s_waitcnt vmcnt(8)
	v_mul_f64 v[18:19], v[46:47], v[4:5]
	;; [unrolled: 2-line block ×4, first 2 shown]
	v_mul_f64 v[24:25], v[42:43], v[14:15]
	v_mul_f64 v[26:27], v[38:39], v[78:79]
	;; [unrolled: 1-line block ×4, first 2 shown]
	v_fma_f64 v[14:15], v[40:41], v[14:15], -v[16:17]
	v_fma_f64 v[6:7], v[44:45], v[6:7], -v[18:19]
	;; [unrolled: 1-line block ×4, first 2 shown]
	v_fma_f64 v[12:13], v[40:41], v[12:13], v[24:25]
	v_fma_f64 v[18:19], v[36:37], v[76:77], v[26:27]
	;; [unrolled: 1-line block ×4, first 2 shown]
	v_add_f64 v[22:23], v[14:15], -v[6:7]
	v_add_f64 v[20:21], v[6:7], v[16:17]
	v_add_f64 v[30:31], v[14:15], v[10:11]
	v_add_f64 v[24:25], v[10:11], -v[16:17]
	v_add_f64 v[26:27], v[12:13], -v[18:19]
	;; [unrolled: 1-line block ×5, first 2 shown]
	v_add_f64 v[36:37], v[2:3], v[6:7]
	v_fma_f64 v[20:21], v[20:21], -0.5, v[2:3]
	v_add_f64 v[42:43], v[6:7], -v[16:17]
	v_fma_f64 v[2:3], v[30:31], -0.5, v[2:3]
	v_add_f64 v[6:7], v[4:5], v[8:9]
	v_add_f64 v[46:47], v[12:13], v[18:19]
	v_add_f64 v[44:45], v[14:15], -v[10:11]
	v_add_f64 v[48:49], v[0:1], v[4:5]
	v_add_f64 v[22:23], v[22:23], v[24:25]
	v_fma_f64 v[30:31], v[26:27], s[16:17], v[20:21]
	v_fma_f64 v[20:21], v[26:27], s[4:5], v[20:21]
	;; [unrolled: 1-line block ×4, first 2 shown]
	v_add_f64 v[38:39], v[12:13], -v[4:5]
	v_add_f64 v[14:15], v[36:37], v[14:15]
	v_add_f64 v[4:5], v[4:5], -v[12:13]
	v_add_f64 v[12:13], v[48:49], v[12:13]
	v_fma_f64 v[30:31], v[28:29], s[12:13], v[30:31]
	v_fma_f64 v[20:21], v[28:29], s[14:15], v[20:21]
	v_add_f64 v[28:29], v[32:33], v[34:35]
	v_fma_f64 v[32:33], v[6:7], -0.5, v[0:1]
	v_fma_f64 v[0:1], v[46:47], -0.5, v[0:1]
	v_fma_f64 v[24:25], v[26:27], s[12:13], v[24:25]
	v_fma_f64 v[26:27], v[26:27], s[14:15], v[2:3]
	v_add_f64 v[34:35], v[14:15], v[10:11]
	v_fma_f64 v[2:3], v[22:23], s[2:3], v[30:31]
	v_fma_f64 v[6:7], v[22:23], s[2:3], v[20:21]
	v_add_f64 v[20:21], v[8:9], -v[18:19]
	v_fma_f64 v[30:31], v[44:45], s[16:17], v[32:33]
	v_fma_f64 v[22:23], v[42:43], s[4:5], v[0:1]
	;; [unrolled: 1-line block ×4, first 2 shown]
	v_add_f64 v[40:41], v[18:19], -v[8:9]
	v_fma_f64 v[14:15], v[28:29], s[2:3], v[26:27]
	v_fma_f64 v[10:11], v[28:29], s[2:3], v[24:25]
	v_add_f64 v[20:21], v[4:5], v[20:21]
	v_add_f64 v[4:5], v[12:13], v[18:19]
	v_fma_f64 v[12:13], v[44:45], s[12:13], v[22:23]
	v_fma_f64 v[22:23], v[42:43], s[12:13], v[30:31]
	;; [unrolled: 1-line block ×4, first 2 shown]
	v_add_f64 v[18:19], v[34:35], v[16:17]
	v_add_f64 v[36:37], v[38:39], v[40:41]
	;; [unrolled: 1-line block ×3, first 2 shown]
	v_fma_f64 v[12:13], v[20:21], s[2:3], v[12:13]
	v_fma_f64 v[8:9], v[20:21], s[2:3], v[32:33]
	buffer_load_dword v20, off, s[24:27], 0 offset:384 ; 4-byte Folded Reload
	v_fma_f64 v[4:5], v[36:37], s[2:3], v[22:23]
	v_fma_f64 v[0:1], v[36:37], s[2:3], v[30:31]
	s_waitcnt vmcnt(0)
	ds_write_b128 v20, v[16:19] offset:30000
	ds_write_b128 v20, v[12:15] offset:30400
	;; [unrolled: 1-line block ×5, first 2 shown]
.LBB0_29:
	s_or_b64 exec, exec, s[18:19]
	buffer_load_dword v86, off, s[24:27], 0 offset:52 ; 4-byte Folded Reload
	buffer_load_dword v87, off, s[24:27], 0 offset:56 ; 4-byte Folded Reload
	s_waitcnt vmcnt(0) lgkmcnt(0)
	s_barrier
	ds_read_b128 v[2:5], v96
	ds_read_b128 v[6:9], v96 offset:2000
	ds_read_b128 v[10:13], v96 offset:4000
	;; [unrolled: 1-line block ×13, first 2 shown]
	s_waitcnt lgkmcnt(12)
	v_mul_f64 v[66:67], v[214:215], v[8:9]
	v_mul_f64 v[68:69], v[214:215], v[6:7]
	s_waitcnt lgkmcnt(10)
	v_mul_f64 v[74:75], v[194:195], v[16:17]
	v_mul_f64 v[76:77], v[194:195], v[14:15]
	ds_read_b128 v[58:61], v96 offset:28000
	ds_read_b128 v[62:65], v96 offset:30000
	v_mul_f64 v[70:71], v[198:199], v[12:13]
	v_mul_f64 v[72:73], v[198:199], v[10:11]
	s_waitcnt lgkmcnt(8)
	v_mul_f64 v[78:79], v[206:207], v[32:33]
	v_fma_f64 v[6:7], v[212:213], v[6:7], v[66:67]
	v_fma_f64 v[8:9], v[212:213], v[8:9], -v[68:69]
	v_fma_f64 v[14:15], v[192:193], v[14:15], v[74:75]
	v_fma_f64 v[16:17], v[192:193], v[16:17], -v[76:77]
	v_mul_f64 v[66:67], v[190:191], v[20:21]
	v_mul_f64 v[68:69], v[190:191], v[18:19]
	;; [unrolled: 1-line block ×4, first 2 shown]
	v_fma_f64 v[10:11], v[196:197], v[10:11], v[70:71]
	v_fma_f64 v[12:13], v[196:197], v[12:13], -v[72:73]
	v_mul_f64 v[70:71], v[230:231], v[24:25]
	v_mul_f64 v[72:73], v[230:231], v[22:23]
	v_fma_f64 v[18:19], v[188:189], v[18:19], v[66:67]
	v_fma_f64 v[20:21], v[188:189], v[20:21], -v[68:69]
	v_fma_f64 v[26:27], v[208:209], v[26:27], v[74:75]
	v_fma_f64 v[28:29], v[208:209], v[28:29], -v[76:77]
	s_waitcnt lgkmcnt(7)
	v_mul_f64 v[66:67], v[202:203], v[36:37]
	v_mul_f64 v[68:69], v[202:203], v[34:35]
	s_waitcnt lgkmcnt(5)
	v_mul_f64 v[74:75], v[226:227], v[44:45]
	v_mul_f64 v[76:77], v[226:227], v[42:43]
	;; [unrolled: 1-line block ×3, first 2 shown]
	v_fma_f64 v[22:23], v[228:229], v[22:23], v[70:71]
	v_fma_f64 v[24:25], v[228:229], v[24:25], -v[72:73]
	v_fma_f64 v[30:31], v[204:205], v[30:31], v[78:79]
	v_fma_f64 v[34:35], v[200:201], v[34:35], v[66:67]
	v_fma_f64 v[36:37], v[200:201], v[36:37], -v[68:69]
	v_fma_f64 v[42:43], v[224:225], v[42:43], v[74:75]
	v_fma_f64 v[44:45], v[224:225], v[44:45], -v[76:77]
	s_waitcnt lgkmcnt(3)
	v_mul_f64 v[66:67], v[218:219], v[52:53]
	v_mul_f64 v[68:69], v[218:219], v[50:51]
	s_waitcnt lgkmcnt(1)
	v_mul_f64 v[74:75], v[238:239], v[60:61]
	v_mul_f64 v[76:77], v[238:239], v[58:59]
	v_fma_f64 v[32:33], v[204:205], v[32:33], -v[80:81]
	v_mul_f64 v[70:71], v[242:243], v[40:41]
	v_mul_f64 v[72:73], v[242:243], v[38:39]
	;; [unrolled: 1-line block ×3, first 2 shown]
	v_fma_f64 v[50:51], v[216:217], v[50:51], v[66:67]
	v_fma_f64 v[52:53], v[216:217], v[52:53], -v[68:69]
	v_fma_f64 v[58:59], v[236:237], v[58:59], v[74:75]
	v_fma_f64 v[60:61], v[236:237], v[60:61], -v[76:77]
	v_mul_f64 v[80:81], v[222:223], v[46:47]
	v_add_f64 v[34:35], v[2:3], -v[34:35]
	v_add_f64 v[36:37], v[4:5], -v[36:37]
	;; [unrolled: 1-line block ×8, first 2 shown]
	v_fma_f64 v[38:39], v[240:241], v[38:39], v[70:71]
	v_fma_f64 v[40:41], v[240:241], v[40:41], -v[72:73]
	v_fma_f64 v[46:47], v[220:221], v[46:47], v[78:79]
	v_fma_f64 v[48:49], v[220:221], v[48:49], -v[80:81]
	v_mul_f64 v[70:71], v[246:247], v[56:57]
	v_mul_f64 v[72:73], v[246:247], v[54:55]
	s_waitcnt lgkmcnt(0)
	v_mul_f64 v[78:79], v[234:235], v[64:65]
	v_mul_f64 v[80:81], v[234:235], v[62:63]
	v_fma_f64 v[2:3], v[2:3], 2.0, -v[34:35]
	v_fma_f64 v[4:5], v[4:5], 2.0, -v[36:37]
	;; [unrolled: 1-line block ×8, first 2 shown]
	v_fma_f64 v[54:55], v[244:245], v[54:55], v[70:71]
	v_fma_f64 v[56:57], v[244:245], v[56:57], -v[72:73]
	v_fma_f64 v[62:63], v[232:233], v[62:63], v[78:79]
	v_fma_f64 v[64:65], v[232:233], v[64:65], -v[80:81]
	v_add_f64 v[18:19], v[2:3], -v[18:19]
	v_add_f64 v[20:21], v[4:5], -v[20:21]
	;; [unrolled: 1-line block ×12, first 2 shown]
	v_add_f64 v[52:53], v[34:35], v[52:53]
	v_add_f64 v[50:51], v[36:37], -v[50:51]
	v_add_f64 v[60:61], v[42:43], v[60:61]
	v_add_f64 v[58:59], v[44:45], -v[58:59]
	v_fma_f64 v[2:3], v[2:3], 2.0, -v[18:19]
	v_fma_f64 v[4:5], v[4:5], 2.0, -v[20:21]
	;; [unrolled: 1-line block ×4, first 2 shown]
	v_mad_u64_u32 v[0:1], s[2:3], s10, v86, 0
	v_fma_f64 v[6:7], v[6:7], 2.0, -v[38:39]
	v_fma_f64 v[8:9], v[8:9], 2.0, -v[40:41]
	;; [unrolled: 1-line block ×8, first 2 shown]
	v_add_f64 v[56:57], v[38:39], v[56:57]
	v_add_f64 v[54:55], v[40:41], -v[54:55]
	v_add_f64 v[64:65], v[46:47], v[64:65]
	v_add_f64 v[62:63], v[48:49], -v[62:63]
	s_mov_b32 s2, 0x667f3bcd
	s_mov_b32 s3, 0xbfe6a09e
	;; [unrolled: 1-line block ×4, first 2 shown]
	v_add_f64 v[70:71], v[2:3], -v[10:11]
	v_add_f64 v[72:73], v[4:5], -v[12:13]
	v_fma_f64 v[10:11], v[60:61], s[4:5], v[52:53]
	v_fma_f64 v[12:13], v[58:59], s[4:5], v[50:51]
	v_fma_f64 v[34:35], v[34:35], 2.0, -v[52:53]
	v_fma_f64 v[36:37], v[36:37], 2.0, -v[50:51]
	;; [unrolled: 1-line block ×4, first 2 shown]
	v_add_f64 v[22:23], v[6:7], -v[22:23]
	v_add_f64 v[24:25], v[8:9], -v[24:25]
	;; [unrolled: 1-line block ×4, first 2 shown]
	v_fma_f64 v[38:39], v[38:39], 2.0, -v[56:57]
	v_fma_f64 v[40:41], v[40:41], 2.0, -v[54:55]
	;; [unrolled: 1-line block ×4, first 2 shown]
	v_fma_f64 v[78:79], v[58:59], s[4:5], v[10:11]
	v_fma_f64 v[80:81], v[60:61], s[2:3], v[12:13]
	;; [unrolled: 1-line block ×4, first 2 shown]
	v_fma_f64 v[6:7], v[6:7], 2.0, -v[22:23]
	v_fma_f64 v[8:9], v[8:9], 2.0, -v[24:25]
	;; [unrolled: 1-line block ×4, first 2 shown]
	v_fma_f64 v[66:67], v[42:43], s[2:3], v[34:35]
	v_fma_f64 v[68:69], v[44:45], s[2:3], v[36:37]
	v_add_f64 v[74:75], v[18:19], v[28:29]
	v_add_f64 v[76:77], v[20:21], -v[26:27]
	v_fma_f64 v[26:27], v[2:3], 2.0, -v[70:71]
	v_fma_f64 v[28:29], v[4:5], 2.0, -v[72:73]
	v_fma_f64 v[2:3], v[46:47], s[2:3], v[38:39]
	v_fma_f64 v[4:5], v[48:49], s[2:3], v[40:41]
	v_add_f64 v[82:83], v[22:23], v[32:33]
	v_add_f64 v[84:85], v[24:25], -v[30:31]
	v_fma_f64 v[62:63], v[62:63], s[4:5], v[10:11]
	v_fma_f64 v[64:65], v[64:65], s[2:3], v[12:13]
	;; [unrolled: 1-line block ×4, first 2 shown]
	v_add_f64 v[58:59], v[6:7], -v[14:15]
	v_add_f64 v[60:61], v[8:9], -v[16:17]
	v_fma_f64 v[48:49], v[48:49], s[4:5], v[2:3]
	v_fma_f64 v[46:47], v[46:47], s[2:3], v[4:5]
	v_fma_f64 v[42:43], v[18:19], 2.0, -v[74:75]
	v_fma_f64 v[44:45], v[20:21], 2.0, -v[76:77]
	;; [unrolled: 1-line block ×14, first 2 shown]
	s_mov_b32 s14, 0xa6aea964
	s_mov_b32 s15, 0x3fd87de2
	v_fma_f64 v[22:23], v[12:13], s[2:3], v[42:43]
	v_fma_f64 v[24:25], v[10:11], s[2:3], v[44:45]
	s_mov_b32 s17, 0xbfd87de2
	s_mov_b32 s16, s14
	v_fma_f64 v[30:31], v[16:17], s[16:17], v[52:53]
	v_fma_f64 v[32:33], v[14:15], s[16:17], v[50:51]
	;; [unrolled: 4-line block ×3, first 2 shown]
	v_add_f64 v[2:3], v[26:27], -v[2:3]
	v_add_f64 v[4:5], v[28:29], -v[4:5]
	v_fma_f64 v[10:11], v[10:11], s[4:5], v[22:23]
	v_fma_f64 v[12:13], v[12:13], s[2:3], v[24:25]
	s_mov_b32 s19, 0x3fed906b
	s_mov_b32 s18, s12
	v_fma_f64 v[14:15], v[14:15], s[18:19], v[30:31]
	v_fma_f64 v[16:17], v[16:17], s[12:13], v[32:33]
	;; [unrolled: 1-line block ×6, first 2 shown]
	v_fma_f64 v[18:19], v[26:27], 2.0, -v[2:3]
	v_fma_f64 v[20:21], v[28:29], 2.0, -v[4:5]
	;; [unrolled: 1-line block ×4, first 2 shown]
	v_fma_f64 v[42:43], v[82:83], s[4:5], v[74:75]
	v_fma_f64 v[44:45], v[84:85], s[4:5], v[76:77]
	v_fma_f64 v[30:31], v[52:53], 2.0, -v[14:15]
	v_fma_f64 v[32:33], v[50:51], 2.0, -v[16:17]
	v_fma_f64 v[50:51], v[62:63], s[18:19], v[78:79]
	v_fma_f64 v[52:53], v[64:65], s[18:19], v[80:81]
	v_fma_f64 v[22:23], v[34:35], 2.0, -v[6:7]
	v_fma_f64 v[24:25], v[36:37], 2.0, -v[8:9]
	v_add_f64 v[34:35], v[70:71], v[60:61]
	v_add_f64 v[36:37], v[72:73], -v[58:59]
	v_fma_f64 v[38:39], v[46:47], s[18:19], v[38:39]
	v_fma_f64 v[40:41], v[48:49], s[12:13], v[40:41]
	;; [unrolled: 1-line block ×6, first 2 shown]
	v_fma_f64 v[50:51], v[70:71], 2.0, -v[34:35]
	v_fma_f64 v[52:53], v[72:73], 2.0, -v[36:37]
	v_fma_f64 v[54:55], v[66:67], 2.0, -v[38:39]
	v_fma_f64 v[56:57], v[68:69], 2.0, -v[40:41]
	v_fma_f64 v[58:59], v[74:75], 2.0, -v[42:43]
	v_fma_f64 v[60:61], v[76:77], 2.0, -v[44:45]
	v_fma_f64 v[62:63], v[78:79], 2.0, -v[46:47]
	v_fma_f64 v[64:65], v[80:81], 2.0, -v[48:49]
	ds_write_b128 v96, v[18:21]
	ds_write_b128 v96, v[22:25] offset:2000
	ds_write_b128 v96, v[26:29] offset:4000
	;; [unrolled: 1-line block ×15, first 2 shown]
	s_waitcnt lgkmcnt(0)
	s_barrier
	ds_read_b128 v[2:5], v96
	ds_read_b128 v[6:9], v96 offset:2000
	buffer_load_dword v15, off, s[24:27], 0 offset:240 ; 4-byte Folded Reload
	buffer_load_dword v16, off, s[24:27], 0 offset:244 ; 4-byte Folded Reload
	;; [unrolled: 1-line block ×4, first 2 shown]
	v_mov_b32_e32 v24, s7
	s_mul_hi_u32 s7, s8, 0xfffffa3d
	s_waitcnt lgkmcnt(1)
	v_mad_u64_u32 v[12:13], s[2:3], s11, v86, v[1:2]
	s_sub_i32 s7, s7, s8
	v_mov_b32_e32 v1, v12
	v_lshlrev_b64 v[0:1], 4, v[0:1]
	v_add_co_u32_e32 v25, vcc, s6, v0
	v_addc_co_u32_e32 v24, vcc, v24, v1, vcc
	s_mul_i32 s6, s9, 0xfffffa3d
	s_add_i32 s7, s7, s6
	s_mul_i32 s6, s8, 0xfffffa3d
	s_lshl_b64 s[6:7], s[6:7], 4
	s_waitcnt vmcnt(0)
	v_mul_f64 v[10:11], v[17:18], v[4:5]
	v_mul_f64 v[13:14], v[17:18], v[2:3]
	v_fma_f64 v[2:3], v[15:16], v[2:3], v[10:11]
	buffer_load_dword v11, off, s[24:27], 0 offset:76 ; 4-byte Folded Reload
	v_fma_f64 v[4:5], v[15:16], v[4:5], -v[13:14]
	s_waitcnt vmcnt(0)
	v_mad_u64_u32 v[18:19], s[2:3], s8, v11, 0
	s_mov_b32 s2, 0xd2f1a9fc
	s_mov_b32 s3, 0x3f40624d
	v_mov_b32_e32 v10, v19
	v_mad_u64_u32 v[14:15], s[4:5], s9, v11, v[10:11]
	ds_read_b128 v[10:13], v96 offset:6400
	v_mul_f64 v[2:3], v[2:3], s[2:3]
	v_mov_b32_e32 v19, v14
	ds_read_b128 v[14:17], v96 offset:4000
	buffer_load_dword v26, off, s[24:27], 0 offset:4 ; 4-byte Folded Reload
	buffer_load_dword v27, off, s[24:27], 0 offset:8 ; 4-byte Folded Reload
	;; [unrolled: 1-line block ×4, first 2 shown]
	v_mul_f64 v[4:5], v[4:5], s[2:3]
	v_lshlrev_b64 v[0:1], 4, v[18:19]
	s_mul_i32 s4, s9, 0x190
	s_mul_hi_u32 s5, s8, 0x190
	s_add_i32 s5, s5, s4
	s_mul_i32 s4, s8, 0x190
	s_lshl_b64 s[4:5], s[4:5], 4
	v_mov_b32_e32 v38, s5
	s_waitcnt vmcnt(0) lgkmcnt(1)
	v_mul_f64 v[20:21], v[28:29], v[12:13]
	v_mul_f64 v[22:23], v[28:29], v[10:11]
	v_fma_f64 v[10:11], v[26:27], v[10:11], v[20:21]
	v_fma_f64 v[12:13], v[26:27], v[12:13], -v[22:23]
	v_add_co_u32_e32 v26, vcc, v25, v0
	v_addc_co_u32_e32 v27, vcc, v24, v1, vcc
	global_store_dwordx4 v[26:27], v[2:5], off
	ds_read_b128 v[0:3], v96 offset:12800
	ds_read_b128 v[18:21], v96 offset:14800
	buffer_load_dword v30, off, s[24:27], 0 offset:36 ; 4-byte Folded Reload
	buffer_load_dword v31, off, s[24:27], 0 offset:40 ; 4-byte Folded Reload
	;; [unrolled: 1-line block ×4, first 2 shown]
	ds_read_b128 v[22:25], v96 offset:19200
	v_mul_f64 v[10:11], v[10:11], s[2:3]
	v_mul_f64 v[12:13], v[12:13], s[2:3]
	v_add_co_u32_e32 v36, vcc, s4, v26
	v_addc_co_u32_e32 v37, vcc, v27, v38, vcc
	s_waitcnt vmcnt(0) lgkmcnt(2)
	v_mul_f64 v[4:5], v[32:33], v[2:3]
	v_mul_f64 v[28:29], v[32:33], v[0:1]
	v_fma_f64 v[4:5], v[30:31], v[0:1], v[4:5]
	v_fma_f64 v[30:31], v[30:31], v[2:3], -v[28:29]
	ds_read_b128 v[0:3], v96 offset:16800
	buffer_load_dword v39, off, s[24:27], 0 offset:20 ; 4-byte Folded Reload
	buffer_load_dword v40, off, s[24:27], 0 offset:24 ; 4-byte Folded Reload
	;; [unrolled: 1-line block ×4, first 2 shown]
	ds_read_b128 v[26:29], v96 offset:25600
	global_store_dwordx4 v[36:37], v[10:13], off
	v_add_co_u32_e32 v36, vcc, s4, v36
	v_mul_f64 v[10:11], v[4:5], s[2:3]
	v_mul_f64 v[12:13], v[30:31], s[2:3]
	v_addc_co_u32_e32 v37, vcc, v37, v38, vcc
	s_waitcnt vmcnt(1) lgkmcnt(2)
	v_mul_f64 v[32:33], v[41:42], v[24:25]
	v_mul_f64 v[34:35], v[41:42], v[22:23]
	v_fma_f64 v[4:5], v[39:40], v[22:23], v[32:33]
	v_fma_f64 v[30:31], v[39:40], v[24:25], -v[34:35]
	ds_read_b128 v[22:25], v96 offset:27600
	buffer_load_dword v39, off, s[24:27], 0 offset:60 ; 4-byte Folded Reload
	buffer_load_dword v40, off, s[24:27], 0 offset:64 ; 4-byte Folded Reload
	;; [unrolled: 1-line block ×4, first 2 shown]
	s_waitcnt vmcnt(0) lgkmcnt(1)
	v_mul_f64 v[32:33], v[41:42], v[28:29]
	v_mul_f64 v[34:35], v[41:42], v[26:27]
	global_store_dwordx4 v[36:37], v[10:13], off
	v_fma_f64 v[28:29], v[39:40], v[28:29], -v[34:35]
	v_mul_f64 v[10:11], v[4:5], s[2:3]
	v_fma_f64 v[4:5], v[39:40], v[26:27], v[32:33]
	buffer_load_dword v39, off, s[24:27], 0 offset:80 ; 4-byte Folded Reload
	buffer_load_dword v40, off, s[24:27], 0 offset:84 ; 4-byte Folded Reload
	;; [unrolled: 1-line block ×4, first 2 shown]
	v_mul_f64 v[12:13], v[30:31], s[2:3]
	v_add_co_u32_e32 v34, vcc, s4, v36
	v_addc_co_u32_e32 v35, vcc, v37, v38, vcc
	v_mul_f64 v[28:29], v[28:29], s[2:3]
	v_mul_f64 v[26:27], v[4:5], s[2:3]
	global_store_dwordx4 v[34:35], v[10:13], off
	s_waitcnt vmcnt(1)
	v_mul_f64 v[30:31], v[41:42], v[8:9]
	v_mul_f64 v[32:33], v[41:42], v[6:7]
	v_fma_f64 v[10:11], v[39:40], v[6:7], v[30:31]
	v_add_co_u32_e32 v30, vcc, s4, v34
	v_addc_co_u32_e32 v31, vcc, v35, v38, vcc
	global_store_dwordx4 v[30:31], v[26:29], off
	ds_read_b128 v[4:7], v96 offset:8400
	ds_read_b128 v[26:29], v96 offset:10400
	buffer_load_dword v34, off, s[24:27], 0 offset:96 ; 4-byte Folded Reload
	buffer_load_dword v35, off, s[24:27], 0 offset:100 ; 4-byte Folded Reload
	;; [unrolled: 1-line block ×4, first 2 shown]
	v_fma_f64 v[12:13], v[39:40], v[8:9], -v[32:33]
	v_mul_f64 v[8:9], v[10:11], s[2:3]
	v_mov_b32_e32 v39, s7
	v_add_co_u32_e32 v30, vcc, s6, v30
	v_addc_co_u32_e32 v31, vcc, v31, v39, vcc
	v_mul_f64 v[10:11], v[12:13], s[2:3]
	s_waitcnt vmcnt(0) lgkmcnt(1)
	v_mul_f64 v[12:13], v[36:37], v[6:7]
	v_mul_f64 v[32:33], v[36:37], v[4:5]
	v_fma_f64 v[4:5], v[34:35], v[4:5], v[12:13]
	v_fma_f64 v[6:7], v[34:35], v[6:7], -v[32:33]
	buffer_load_dword v34, off, s[24:27], 0 offset:112 ; 4-byte Folded Reload
	buffer_load_dword v35, off, s[24:27], 0 offset:116 ; 4-byte Folded Reload
	;; [unrolled: 1-line block ×4, first 2 shown]
	v_mul_f64 v[4:5], v[4:5], s[2:3]
	global_store_dwordx4 v[30:31], v[8:11], off
	ds_read_b128 v[8:11], v96 offset:21200
	v_mul_f64 v[6:7], v[6:7], s[2:3]
	v_add_co_u32_e32 v30, vcc, s4, v30
	v_addc_co_u32_e32 v31, vcc, v31, v38, vcc
	s_waitcnt vmcnt(1)
	v_mul_f64 v[12:13], v[36:37], v[20:21]
	v_mul_f64 v[32:33], v[36:37], v[18:19]
	v_fma_f64 v[12:13], v[34:35], v[18:19], v[12:13]
	v_fma_f64 v[32:33], v[34:35], v[20:21], -v[32:33]
	ds_read_b128 v[18:21], v96 offset:23200
	buffer_load_dword v40, off, s[24:27], 0 offset:128 ; 4-byte Folded Reload
	buffer_load_dword v41, off, s[24:27], 0 offset:132 ; 4-byte Folded Reload
	;; [unrolled: 1-line block ×4, first 2 shown]
	s_waitcnt vmcnt(0) lgkmcnt(1)
	v_mul_f64 v[34:35], v[42:43], v[10:11]
	v_mul_f64 v[36:37], v[42:43], v[8:9]
	global_store_dwordx4 v[30:31], v[4:7], off
	v_add_co_u32_e32 v30, vcc, s4, v30
	v_mul_f64 v[4:5], v[12:13], s[2:3]
	v_mul_f64 v[6:7], v[32:33], s[2:3]
	v_addc_co_u32_e32 v31, vcc, v31, v38, vcc
	v_fma_f64 v[8:9], v[40:41], v[8:9], v[34:35]
	v_fma_f64 v[10:11], v[40:41], v[10:11], -v[36:37]
	buffer_load_dword v34, off, s[24:27], 0 offset:144 ; 4-byte Folded Reload
	buffer_load_dword v35, off, s[24:27], 0 offset:148 ; 4-byte Folded Reload
	;; [unrolled: 1-line block ×4, first 2 shown]
	s_waitcnt vmcnt(0)
	v_mul_f64 v[12:13], v[36:37], v[24:25]
	v_mul_f64 v[32:33], v[36:37], v[22:23]
	global_store_dwordx4 v[30:31], v[4:7], off
	s_nop 0
	v_mul_f64 v[4:5], v[8:9], s[2:3]
	v_mul_f64 v[6:7], v[10:11], s[2:3]
	v_fma_f64 v[8:9], v[34:35], v[22:23], v[12:13]
	v_fma_f64 v[10:11], v[34:35], v[24:25], -v[32:33]
	buffer_load_dword v32, off, s[24:27], 0 offset:160 ; 4-byte Folded Reload
	buffer_load_dword v33, off, s[24:27], 0 offset:164 ; 4-byte Folded Reload
	;; [unrolled: 1-line block ×4, first 2 shown]
	v_add_co_u32_e32 v24, vcc, s4, v30
	v_addc_co_u32_e32 v25, vcc, v31, v38, vcc
	global_store_dwordx4 v[24:25], v[4:7], off
	s_waitcnt vmcnt(1)
	v_mul_f64 v[12:13], v[34:35], v[16:17]
	v_mul_f64 v[22:23], v[34:35], v[14:15]
	;; [unrolled: 1-line block ×4, first 2 shown]
	v_fma_f64 v[8:9], v[32:33], v[14:15], v[12:13]
	v_fma_f64 v[10:11], v[32:33], v[16:17], -v[22:23]
	buffer_load_dword v30, off, s[24:27], 0 offset:192 ; 4-byte Folded Reload
	buffer_load_dword v31, off, s[24:27], 0 offset:196 ; 4-byte Folded Reload
	;; [unrolled: 1-line block ×4, first 2 shown]
	v_add_co_u32_e32 v16, vcc, s4, v24
	v_addc_co_u32_e32 v17, vcc, v25, v38, vcc
	global_store_dwordx4 v[16:17], v[4:7], off
	buffer_load_dword v22, off, s[24:27], 0 offset:176 ; 4-byte Folded Reload
	buffer_load_dword v23, off, s[24:27], 0 offset:180 ; 4-byte Folded Reload
	;; [unrolled: 1-line block ×4, first 2 shown]
	v_mul_f64 v[4:5], v[8:9], s[2:3]
	v_mul_f64 v[6:7], v[10:11], s[2:3]
	v_add_co_u32_e32 v16, vcc, s6, v16
	v_addc_co_u32_e32 v17, vcc, v17, v39, vcc
	global_store_dwordx4 v[16:17], v[4:7], off
	v_add_co_u32_e32 v16, vcc, s4, v16
	v_addc_co_u32_e32 v17, vcc, v17, v38, vcc
	s_waitcnt vmcnt(6)
	v_mul_f64 v[12:13], v[32:33], v[28:29]
	v_mul_f64 v[14:15], v[32:33], v[26:27]
	v_fma_f64 v[8:9], v[30:31], v[26:27], v[12:13]
	v_fma_f64 v[10:11], v[30:31], v[28:29], -v[14:15]
	s_waitcnt vmcnt(1)
	v_mul_f64 v[12:13], v[24:25], v[2:3]
	v_mul_f64 v[14:15], v[24:25], v[0:1]
	;; [unrolled: 1-line block ×4, first 2 shown]
	ds_read_b128 v[8:11], v96 offset:29600
	buffer_load_dword v26, off, s[24:27], 0 offset:208 ; 4-byte Folded Reload
	buffer_load_dword v27, off, s[24:27], 0 offset:212 ; 4-byte Folded Reload
	;; [unrolled: 1-line block ×4, first 2 shown]
	v_fma_f64 v[0:1], v[22:23], v[0:1], v[12:13]
	v_fma_f64 v[2:3], v[22:23], v[2:3], -v[14:15]
	v_mul_f64 v[0:1], v[0:1], s[2:3]
	v_mul_f64 v[2:3], v[2:3], s[2:3]
	s_waitcnt vmcnt(0) lgkmcnt(1)
	v_mul_f64 v[12:13], v[28:29], v[20:21]
	v_mul_f64 v[14:15], v[28:29], v[18:19]
	buffer_load_dword v28, off, s[24:27], 0 offset:224 ; 4-byte Folded Reload
	buffer_load_dword v29, off, s[24:27], 0 offset:228 ; 4-byte Folded Reload
	;; [unrolled: 1-line block ×4, first 2 shown]
	s_waitcnt vmcnt(0) lgkmcnt(0)
	v_mul_f64 v[22:23], v[30:31], v[10:11]
	v_mul_f64 v[24:25], v[30:31], v[8:9]
	global_store_dwordx4 v[16:17], v[4:7], off
	v_fma_f64 v[8:9], v[28:29], v[8:9], v[22:23]
	v_fma_f64 v[4:5], v[26:27], v[18:19], v[12:13]
	v_fma_f64 v[6:7], v[26:27], v[20:21], -v[14:15]
	v_fma_f64 v[10:11], v[28:29], v[10:11], -v[24:25]
	v_add_co_u32_e32 v12, vcc, s4, v16
	v_addc_co_u32_e32 v13, vcc, v17, v38, vcc
	v_mul_f64 v[8:9], v[8:9], s[2:3]
	v_mul_f64 v[4:5], v[4:5], s[2:3]
	;; [unrolled: 1-line block ×4, first 2 shown]
	global_store_dwordx4 v[12:13], v[0:3], off
	s_nop 0
	v_add_co_u32_e32 v0, vcc, s4, v12
	v_addc_co_u32_e32 v1, vcc, v13, v38, vcc
	global_store_dwordx4 v[0:1], v[4:7], off
	v_add_co_u32_e32 v0, vcc, s4, v0
	v_addc_co_u32_e32 v1, vcc, v1, v38, vcc
	global_store_dwordx4 v[0:1], v[8:11], off
	s_and_b64 exec, exec, s[0:1]
	s_cbranch_execz .LBB0_31
; %bb.30:
	buffer_load_dword v17, off, s[24:27], 0 ; 4-byte Folded Reload
	v_add_co_u32_e32 v2, vcc, 0x1000, v97
	s_movk_i32 s0, 0x3000
	v_mov_b32_e32 v16, s5
	s_waitcnt vmcnt(0)
	v_addc_co_u32_e32 v3, vcc, 0, v17, vcc
	global_load_dwordx4 v[2:5], v[2:3], off offset:1904
	ds_read_b128 v[6:9], v96 offset:6000
	ds_read_b128 v[10:13], v96 offset:12400
	s_waitcnt vmcnt(0) lgkmcnt(1)
	v_mul_f64 v[14:15], v[8:9], v[4:5]
	v_mul_f64 v[4:5], v[6:7], v[4:5]
	v_fma_f64 v[6:7], v[6:7], v[2:3], v[14:15]
	v_fma_f64 v[4:5], v[2:3], v[8:9], -v[4:5]
	v_mov_b32_e32 v8, s7
	v_mul_f64 v[2:3], v[6:7], s[2:3]
	v_mul_f64 v[4:5], v[4:5], s[2:3]
	v_add_co_u32_e32 v6, vcc, s6, v0
	v_addc_co_u32_e32 v7, vcc, v1, v8, vcc
	v_add_co_u32_e32 v0, vcc, s0, v97
	v_addc_co_u32_e32 v1, vcc, 0, v17, vcc
	global_store_dwordx4 v[6:7], v[2:5], off
	global_load_dwordx4 v[0:3], v[0:1], off offset:112
	s_movk_i32 s0, 0x4000
	s_waitcnt vmcnt(0) lgkmcnt(0)
	v_mul_f64 v[4:5], v[12:13], v[2:3]
	v_mul_f64 v[2:3], v[10:11], v[2:3]
	v_fma_f64 v[4:5], v[10:11], v[0:1], v[4:5]
	v_fma_f64 v[2:3], v[0:1], v[12:13], -v[2:3]
	v_mul_f64 v[0:1], v[4:5], s[2:3]
	v_mul_f64 v[2:3], v[2:3], s[2:3]
	v_add_co_u32_e32 v4, vcc, s0, v97
	v_addc_co_u32_e32 v5, vcc, 0, v17, vcc
	v_add_co_u32_e32 v12, vcc, s4, v6
	v_addc_co_u32_e32 v13, vcc, v7, v16, vcc
	global_store_dwordx4 v[12:13], v[0:3], off
	global_load_dwordx4 v[0:3], v[4:5], off offset:2416
	ds_read_b128 v[4:7], v96 offset:18800
	ds_read_b128 v[8:11], v96 offset:25200
	s_movk_i32 s0, 0x6000
	s_waitcnt vmcnt(0) lgkmcnt(1)
	v_mul_f64 v[14:15], v[6:7], v[2:3]
	v_mul_f64 v[2:3], v[4:5], v[2:3]
	v_fma_f64 v[4:5], v[4:5], v[0:1], v[14:15]
	v_fma_f64 v[2:3], v[0:1], v[6:7], -v[2:3]
	v_mul_f64 v[0:1], v[4:5], s[2:3]
	v_mul_f64 v[2:3], v[2:3], s[2:3]
	v_add_co_u32_e32 v4, vcc, s0, v97
	v_addc_co_u32_e32 v5, vcc, 0, v17, vcc
	v_add_co_u32_e32 v6, vcc, s4, v12
	v_addc_co_u32_e32 v7, vcc, v13, v16, vcc
	global_store_dwordx4 v[6:7], v[0:3], off
	global_load_dwordx4 v[0:3], v[4:5], off offset:624
	s_movk_i32 s0, 0x7000
	s_waitcnt vmcnt(0) lgkmcnt(0)
	v_mul_f64 v[4:5], v[10:11], v[2:3]
	v_mul_f64 v[2:3], v[8:9], v[2:3]
	v_fma_f64 v[4:5], v[8:9], v[0:1], v[4:5]
	v_fma_f64 v[2:3], v[0:1], v[10:11], -v[2:3]
	v_mul_f64 v[0:1], v[4:5], s[2:3]
	v_mul_f64 v[2:3], v[2:3], s[2:3]
	v_add_co_u32_e32 v4, vcc, s0, v97
	v_addc_co_u32_e32 v5, vcc, 0, v17, vcc
	v_add_co_u32_e32 v8, vcc, s4, v6
	v_addc_co_u32_e32 v9, vcc, v7, v16, vcc
	global_store_dwordx4 v[8:9], v[0:3], off
	global_load_dwordx4 v[0:3], v[4:5], off offset:2928
	ds_read_b128 v[4:7], v96 offset:31600
	s_waitcnt vmcnt(0) lgkmcnt(0)
	v_mul_f64 v[10:11], v[6:7], v[2:3]
	v_mul_f64 v[2:3], v[4:5], v[2:3]
	v_fma_f64 v[4:5], v[4:5], v[0:1], v[10:11]
	v_fma_f64 v[2:3], v[0:1], v[6:7], -v[2:3]
	v_mul_f64 v[0:1], v[4:5], s[2:3]
	v_mul_f64 v[2:3], v[2:3], s[2:3]
	v_add_co_u32_e32 v4, vcc, s4, v8
	v_addc_co_u32_e32 v5, vcc, v9, v16, vcc
	global_store_dwordx4 v[4:5], v[0:3], off
.LBB0_31:
	s_endpgm
	.section	.rodata,"a",@progbits
	.p2align	6, 0x0
	.amdhsa_kernel bluestein_single_back_len2000_dim1_dp_op_CI_CI
		.amdhsa_group_segment_fixed_size 32000
		.amdhsa_private_segment_fixed_size 468
		.amdhsa_kernarg_size 104
		.amdhsa_user_sgpr_count 6
		.amdhsa_user_sgpr_private_segment_buffer 1
		.amdhsa_user_sgpr_dispatch_ptr 0
		.amdhsa_user_sgpr_queue_ptr 0
		.amdhsa_user_sgpr_kernarg_segment_ptr 1
		.amdhsa_user_sgpr_dispatch_id 0
		.amdhsa_user_sgpr_flat_scratch_init 0
		.amdhsa_user_sgpr_private_segment_size 0
		.amdhsa_uses_dynamic_stack 0
		.amdhsa_system_sgpr_private_segment_wavefront_offset 1
		.amdhsa_system_sgpr_workgroup_id_x 1
		.amdhsa_system_sgpr_workgroup_id_y 0
		.amdhsa_system_sgpr_workgroup_id_z 0
		.amdhsa_system_sgpr_workgroup_info 0
		.amdhsa_system_vgpr_workitem_id 0
		.amdhsa_next_free_vgpr 256
		.amdhsa_next_free_sgpr 28
		.amdhsa_reserve_vcc 1
		.amdhsa_reserve_flat_scratch 0
		.amdhsa_float_round_mode_32 0
		.amdhsa_float_round_mode_16_64 0
		.amdhsa_float_denorm_mode_32 3
		.amdhsa_float_denorm_mode_16_64 3
		.amdhsa_dx10_clamp 1
		.amdhsa_ieee_mode 1
		.amdhsa_fp16_overflow 0
		.amdhsa_exception_fp_ieee_invalid_op 0
		.amdhsa_exception_fp_denorm_src 0
		.amdhsa_exception_fp_ieee_div_zero 0
		.amdhsa_exception_fp_ieee_overflow 0
		.amdhsa_exception_fp_ieee_underflow 0
		.amdhsa_exception_fp_ieee_inexact 0
		.amdhsa_exception_int_div_zero 0
	.end_amdhsa_kernel
	.text
.Lfunc_end0:
	.size	bluestein_single_back_len2000_dim1_dp_op_CI_CI, .Lfunc_end0-bluestein_single_back_len2000_dim1_dp_op_CI_CI
                                        ; -- End function
	.section	.AMDGPU.csdata,"",@progbits
; Kernel info:
; codeLenInByte = 27492
; NumSgprs: 32
; NumVgprs: 256
; ScratchSize: 468
; MemoryBound: 0
; FloatMode: 240
; IeeeMode: 1
; LDSByteSize: 32000 bytes/workgroup (compile time only)
; SGPRBlocks: 3
; VGPRBlocks: 63
; NumSGPRsForWavesPerEU: 32
; NumVGPRsForWavesPerEU: 256
; Occupancy: 1
; WaveLimiterHint : 1
; COMPUTE_PGM_RSRC2:SCRATCH_EN: 1
; COMPUTE_PGM_RSRC2:USER_SGPR: 6
; COMPUTE_PGM_RSRC2:TRAP_HANDLER: 0
; COMPUTE_PGM_RSRC2:TGID_X_EN: 1
; COMPUTE_PGM_RSRC2:TGID_Y_EN: 0
; COMPUTE_PGM_RSRC2:TGID_Z_EN: 0
; COMPUTE_PGM_RSRC2:TIDIG_COMP_CNT: 0
	.type	__hip_cuid_ee75c0af89e61450,@object ; @__hip_cuid_ee75c0af89e61450
	.section	.bss,"aw",@nobits
	.globl	__hip_cuid_ee75c0af89e61450
__hip_cuid_ee75c0af89e61450:
	.byte	0                               ; 0x0
	.size	__hip_cuid_ee75c0af89e61450, 1

	.ident	"AMD clang version 19.0.0git (https://github.com/RadeonOpenCompute/llvm-project roc-6.4.0 25133 c7fe45cf4b819c5991fe208aaa96edf142730f1d)"
	.section	".note.GNU-stack","",@progbits
	.addrsig
	.addrsig_sym __hip_cuid_ee75c0af89e61450
	.amdgpu_metadata
---
amdhsa.kernels:
  - .args:
      - .actual_access:  read_only
        .address_space:  global
        .offset:         0
        .size:           8
        .value_kind:     global_buffer
      - .actual_access:  read_only
        .address_space:  global
        .offset:         8
        .size:           8
        .value_kind:     global_buffer
      - .actual_access:  read_only
        .address_space:  global
        .offset:         16
        .size:           8
        .value_kind:     global_buffer
      - .actual_access:  read_only
        .address_space:  global
        .offset:         24
        .size:           8
        .value_kind:     global_buffer
      - .actual_access:  read_only
        .address_space:  global
        .offset:         32
        .size:           8
        .value_kind:     global_buffer
      - .offset:         40
        .size:           8
        .value_kind:     by_value
      - .address_space:  global
        .offset:         48
        .size:           8
        .value_kind:     global_buffer
      - .address_space:  global
        .offset:         56
        .size:           8
        .value_kind:     global_buffer
      - .address_space:  global
        .offset:         64
        .size:           8
        .value_kind:     global_buffer
      - .address_space:  global
        .offset:         72
        .size:           8
        .value_kind:     global_buffer
      - .offset:         80
        .size:           4
        .value_kind:     by_value
      - .address_space:  global
        .offset:         88
        .size:           8
        .value_kind:     global_buffer
      - .address_space:  global
        .offset:         96
        .size:           8
        .value_kind:     global_buffer
    .group_segment_fixed_size: 32000
    .kernarg_segment_align: 8
    .kernarg_segment_size: 104
    .language:       OpenCL C
    .language_version:
      - 2
      - 0
    .max_flat_workgroup_size: 125
    .name:           bluestein_single_back_len2000_dim1_dp_op_CI_CI
    .private_segment_fixed_size: 468
    .sgpr_count:     32
    .sgpr_spill_count: 0
    .symbol:         bluestein_single_back_len2000_dim1_dp_op_CI_CI.kd
    .uniform_work_group_size: 1
    .uses_dynamic_stack: false
    .vgpr_count:     256
    .vgpr_spill_count: 116
    .wavefront_size: 64
amdhsa.target:   amdgcn-amd-amdhsa--gfx906
amdhsa.version:
  - 1
  - 2
...

	.end_amdgpu_metadata
